;; amdgpu-corpus repo=ROCm/rocFFT kind=compiled arch=gfx906 opt=O3
	.text
	.amdgcn_target "amdgcn-amd-amdhsa--gfx906"
	.amdhsa_code_object_version 6
	.protected	fft_rtc_fwd_len375_factors_5_5_5_3_wgs_125_tpt_25_halfLds_dp_ip_CI_sbrr_dirReg ; -- Begin function fft_rtc_fwd_len375_factors_5_5_5_3_wgs_125_tpt_25_halfLds_dp_ip_CI_sbrr_dirReg
	.globl	fft_rtc_fwd_len375_factors_5_5_5_3_wgs_125_tpt_25_halfLds_dp_ip_CI_sbrr_dirReg
	.p2align	8
	.type	fft_rtc_fwd_len375_factors_5_5_5_3_wgs_125_tpt_25_halfLds_dp_ip_CI_sbrr_dirReg,@function
fft_rtc_fwd_len375_factors_5_5_5_3_wgs_125_tpt_25_halfLds_dp_ip_CI_sbrr_dirReg: ; @fft_rtc_fwd_len375_factors_5_5_5_3_wgs_125_tpt_25_halfLds_dp_ip_CI_sbrr_dirReg
; %bb.0:
	s_load_dwordx2 s[14:15], s[4:5], 0x18
	s_load_dwordx4 s[8:11], s[4:5], 0x0
	s_load_dwordx2 s[12:13], s[4:5], 0x50
	v_mul_u32_u24_e32 v1, 0xa3e, v0
	v_lshrrev_b32_e32 v1, 16, v1
	v_mad_u64_u32 v[62:63], s[0:1], s6, 5, v[1:2]
	s_waitcnt lgkmcnt(0)
	s_load_dwordx2 s[2:3], s[14:15], 0x0
	v_mov_b32_e32 v3, 0
	v_cmp_lt_u64_e64 s[0:1], s[10:11], 2
	v_mov_b32_e32 v63, v3
	v_mov_b32_e32 v1, 0
	;; [unrolled: 1-line block ×3, first 2 shown]
	s_and_b64 vcc, exec, s[0:1]
	v_mov_b32_e32 v2, 0
	v_mov_b32_e32 v8, v63
	s_cbranch_vccnz .LBB0_8
; %bb.1:
	s_load_dwordx2 s[0:1], s[4:5], 0x10
	s_add_u32 s6, s14, 8
	s_addc_u32 s7, s15, 0
	v_mov_b32_e32 v1, 0
	v_mov_b32_e32 v5, v62
	s_waitcnt lgkmcnt(0)
	s_add_u32 s18, s0, 8
	s_mov_b64 s[16:17], 1
	v_mov_b32_e32 v2, 0
	s_addc_u32 s19, s1, 0
	v_mov_b32_e32 v6, v63
.LBB0_2:                                ; =>This Inner Loop Header: Depth=1
	s_load_dwordx2 s[20:21], s[18:19], 0x0
                                        ; implicit-def: $vgpr7_vgpr8
	s_waitcnt lgkmcnt(0)
	v_or_b32_e32 v4, s21, v6
	v_cmp_ne_u64_e32 vcc, 0, v[3:4]
	s_and_saveexec_b64 s[0:1], vcc
	s_xor_b64 s[22:23], exec, s[0:1]
	s_cbranch_execz .LBB0_4
; %bb.3:                                ;   in Loop: Header=BB0_2 Depth=1
	v_cvt_f32_u32_e32 v4, s20
	v_cvt_f32_u32_e32 v7, s21
	s_sub_u32 s0, 0, s20
	s_subb_u32 s1, 0, s21
	v_mac_f32_e32 v4, 0x4f800000, v7
	v_rcp_f32_e32 v4, v4
	v_mul_f32_e32 v4, 0x5f7ffffc, v4
	v_mul_f32_e32 v7, 0x2f800000, v4
	v_trunc_f32_e32 v7, v7
	v_mac_f32_e32 v4, 0xcf800000, v7
	v_cvt_u32_f32_e32 v7, v7
	v_cvt_u32_f32_e32 v4, v4
	v_mul_lo_u32 v8, s0, v7
	v_mul_hi_u32 v9, s0, v4
	v_mul_lo_u32 v11, s1, v4
	v_mul_lo_u32 v10, s0, v4
	v_add_u32_e32 v8, v9, v8
	v_add_u32_e32 v8, v8, v11
	v_mul_hi_u32 v9, v4, v10
	v_mul_lo_u32 v11, v4, v8
	v_mul_hi_u32 v13, v4, v8
	v_mul_hi_u32 v12, v7, v10
	v_mul_lo_u32 v10, v7, v10
	v_mul_hi_u32 v14, v7, v8
	v_add_co_u32_e32 v9, vcc, v9, v11
	v_addc_co_u32_e32 v11, vcc, 0, v13, vcc
	v_mul_lo_u32 v8, v7, v8
	v_add_co_u32_e32 v9, vcc, v9, v10
	v_addc_co_u32_e32 v9, vcc, v11, v12, vcc
	v_addc_co_u32_e32 v10, vcc, 0, v14, vcc
	v_add_co_u32_e32 v8, vcc, v9, v8
	v_addc_co_u32_e32 v9, vcc, 0, v10, vcc
	v_add_co_u32_e32 v4, vcc, v4, v8
	v_addc_co_u32_e32 v7, vcc, v7, v9, vcc
	v_mul_lo_u32 v8, s0, v7
	v_mul_hi_u32 v9, s0, v4
	v_mul_lo_u32 v10, s1, v4
	v_mul_lo_u32 v11, s0, v4
	v_add_u32_e32 v8, v9, v8
	v_add_u32_e32 v8, v8, v10
	v_mul_lo_u32 v12, v4, v8
	v_mul_hi_u32 v13, v4, v11
	v_mul_hi_u32 v14, v4, v8
	;; [unrolled: 1-line block ×3, first 2 shown]
	v_mul_lo_u32 v11, v7, v11
	v_mul_hi_u32 v9, v7, v8
	v_add_co_u32_e32 v12, vcc, v13, v12
	v_addc_co_u32_e32 v13, vcc, 0, v14, vcc
	v_mul_lo_u32 v8, v7, v8
	v_add_co_u32_e32 v11, vcc, v12, v11
	v_addc_co_u32_e32 v10, vcc, v13, v10, vcc
	v_addc_co_u32_e32 v9, vcc, 0, v9, vcc
	v_add_co_u32_e32 v8, vcc, v10, v8
	v_addc_co_u32_e32 v9, vcc, 0, v9, vcc
	v_add_co_u32_e32 v4, vcc, v4, v8
	v_addc_co_u32_e32 v9, vcc, v7, v9, vcc
	v_mad_u64_u32 v[7:8], s[0:1], v5, v9, 0
	v_mul_hi_u32 v10, v5, v4
	v_add_co_u32_e32 v11, vcc, v10, v7
	v_addc_co_u32_e32 v12, vcc, 0, v8, vcc
	v_mad_u64_u32 v[7:8], s[0:1], v6, v4, 0
	v_mad_u64_u32 v[9:10], s[0:1], v6, v9, 0
	v_add_co_u32_e32 v4, vcc, v11, v7
	v_addc_co_u32_e32 v4, vcc, v12, v8, vcc
	v_addc_co_u32_e32 v7, vcc, 0, v10, vcc
	v_add_co_u32_e32 v4, vcc, v4, v9
	v_addc_co_u32_e32 v9, vcc, 0, v7, vcc
	v_mul_lo_u32 v10, s21, v4
	v_mul_lo_u32 v11, s20, v9
	v_mad_u64_u32 v[7:8], s[0:1], s20, v4, 0
	v_add3_u32 v8, v8, v11, v10
	v_sub_u32_e32 v10, v6, v8
	v_mov_b32_e32 v11, s21
	v_sub_co_u32_e32 v7, vcc, v5, v7
	v_subb_co_u32_e64 v10, s[0:1], v10, v11, vcc
	v_subrev_co_u32_e64 v11, s[0:1], s20, v7
	v_subbrev_co_u32_e64 v10, s[0:1], 0, v10, s[0:1]
	v_cmp_le_u32_e64 s[0:1], s21, v10
	v_cndmask_b32_e64 v12, 0, -1, s[0:1]
	v_cmp_le_u32_e64 s[0:1], s20, v11
	v_cndmask_b32_e64 v11, 0, -1, s[0:1]
	v_cmp_eq_u32_e64 s[0:1], s21, v10
	v_cndmask_b32_e64 v10, v12, v11, s[0:1]
	v_add_co_u32_e64 v11, s[0:1], 2, v4
	v_addc_co_u32_e64 v12, s[0:1], 0, v9, s[0:1]
	v_add_co_u32_e64 v13, s[0:1], 1, v4
	v_addc_co_u32_e64 v14, s[0:1], 0, v9, s[0:1]
	v_subb_co_u32_e32 v8, vcc, v6, v8, vcc
	v_cmp_ne_u32_e64 s[0:1], 0, v10
	v_cmp_le_u32_e32 vcc, s21, v8
	v_cndmask_b32_e64 v10, v14, v12, s[0:1]
	v_cndmask_b32_e64 v12, 0, -1, vcc
	v_cmp_le_u32_e32 vcc, s20, v7
	v_cndmask_b32_e64 v7, 0, -1, vcc
	v_cmp_eq_u32_e32 vcc, s21, v8
	v_cndmask_b32_e32 v7, v12, v7, vcc
	v_cmp_ne_u32_e32 vcc, 0, v7
	v_cndmask_b32_e64 v7, v13, v11, s[0:1]
	v_cndmask_b32_e32 v8, v9, v10, vcc
	v_cndmask_b32_e32 v7, v4, v7, vcc
.LBB0_4:                                ;   in Loop: Header=BB0_2 Depth=1
	s_andn2_saveexec_b64 s[0:1], s[22:23]
	s_cbranch_execz .LBB0_6
; %bb.5:                                ;   in Loop: Header=BB0_2 Depth=1
	v_cvt_f32_u32_e32 v4, s20
	s_sub_i32 s22, 0, s20
	v_rcp_iflag_f32_e32 v4, v4
	v_mul_f32_e32 v4, 0x4f7ffffe, v4
	v_cvt_u32_f32_e32 v4, v4
	v_mul_lo_u32 v7, s22, v4
	v_mul_hi_u32 v7, v4, v7
	v_add_u32_e32 v4, v4, v7
	v_mul_hi_u32 v4, v5, v4
	v_mul_lo_u32 v7, v4, s20
	v_add_u32_e32 v8, 1, v4
	v_sub_u32_e32 v7, v5, v7
	v_subrev_u32_e32 v9, s20, v7
	v_cmp_le_u32_e32 vcc, s20, v7
	v_cndmask_b32_e32 v7, v7, v9, vcc
	v_cndmask_b32_e32 v4, v4, v8, vcc
	v_add_u32_e32 v8, 1, v4
	v_cmp_le_u32_e32 vcc, s20, v7
	v_cndmask_b32_e32 v7, v4, v8, vcc
	v_mov_b32_e32 v8, v3
.LBB0_6:                                ;   in Loop: Header=BB0_2 Depth=1
	s_or_b64 exec, exec, s[0:1]
	v_mul_lo_u32 v4, v8, s20
	v_mul_lo_u32 v11, v7, s21
	v_mad_u64_u32 v[9:10], s[0:1], v7, s20, 0
	s_load_dwordx2 s[0:1], s[6:7], 0x0
	s_add_u32 s16, s16, 1
	v_add3_u32 v4, v10, v11, v4
	v_sub_co_u32_e32 v5, vcc, v5, v9
	v_subb_co_u32_e32 v4, vcc, v6, v4, vcc
	s_waitcnt lgkmcnt(0)
	v_mul_lo_u32 v4, s0, v4
	v_mul_lo_u32 v6, s1, v5
	v_mad_u64_u32 v[1:2], s[0:1], s0, v5, v[1:2]
	s_addc_u32 s17, s17, 0
	s_add_u32 s6, s6, 8
	v_add3_u32 v2, v6, v2, v4
	v_mov_b32_e32 v4, s10
	v_mov_b32_e32 v5, s11
	s_addc_u32 s7, s7, 0
	v_cmp_ge_u64_e32 vcc, s[16:17], v[4:5]
	s_add_u32 s18, s18, 8
	s_addc_u32 s19, s19, 0
	s_cbranch_vccnz .LBB0_8
; %bb.7:                                ;   in Loop: Header=BB0_2 Depth=1
	v_mov_b32_e32 v5, v7
	v_mov_b32_e32 v6, v8
	s_branch .LBB0_2
.LBB0_8:
	s_lshl_b64 s[0:1], s[10:11], 3
	s_add_u32 s0, s14, s0
	s_addc_u32 s1, s15, s1
	s_load_dwordx2 s[6:7], s[0:1], 0x0
	s_load_dwordx2 s[10:11], s[4:5], 0x20
                                        ; implicit-def: $vgpr68
                                        ; implicit-def: $vgpr69
                                        ; implicit-def: $vgpr66
                                        ; implicit-def: $vgpr67
	s_waitcnt lgkmcnt(0)
	v_mad_u64_u32 v[1:2], s[0:1], s6, v7, v[1:2]
	s_mov_b32 s0, 0xa3d70a4
	v_mul_lo_u32 v3, s6, v8
	v_mul_lo_u32 v4, s7, v7
	v_mul_hi_u32 v5, v0, s0
	v_cmp_gt_u64_e32 vcc, s[10:11], v[7:8]
	v_cmp_le_u64_e64 s[0:1], s[10:11], v[7:8]
	v_add3_u32 v2, v4, v2, v3
	v_mul_u32_u24_e32 v3, 25, v5
	v_sub_u32_e32 v63, v0, v3
	v_add_u32_e32 v65, 25, v63
	v_add_u32_e32 v64, 50, v63
	s_and_saveexec_b64 s[4:5], s[0:1]
	s_xor_b64 s[0:1], exec, s[4:5]
; %bb.9:
	v_add_u32_e32 v68, 25, v63
	v_add_u32_e32 v69, 50, v63
	;; [unrolled: 1-line block ×4, first 2 shown]
; %bb.10:
	s_or_saveexec_b64 s[4:5], s[0:1]
	v_lshlrev_b64 v[60:61], 4, v[1:2]
                                        ; implicit-def: $vgpr2_vgpr3
                                        ; implicit-def: $vgpr6_vgpr7
                                        ; implicit-def: $vgpr10_vgpr11
                                        ; implicit-def: $vgpr14_vgpr15
                                        ; implicit-def: $vgpr18_vgpr19
                                        ; implicit-def: $vgpr22_vgpr23
                                        ; implicit-def: $vgpr26_vgpr27
                                        ; implicit-def: $vgpr30_vgpr31
                                        ; implicit-def: $vgpr34_vgpr35
                                        ; implicit-def: $vgpr38_vgpr39
                                        ; implicit-def: $vgpr42_vgpr43
                                        ; implicit-def: $vgpr46_vgpr47
                                        ; implicit-def: $vgpr50_vgpr51
                                        ; implicit-def: $vgpr54_vgpr55
                                        ; implicit-def: $vgpr58_vgpr59
	s_xor_b64 exec, exec, s[4:5]
	s_cbranch_execz .LBB0_12
; %bb.11:
	v_mad_u64_u32 v[0:1], s[0:1], s2, v63, 0
	v_add_u32_e32 v66, 0x4b, v63
	v_mov_b32_e32 v4, s13
	v_mad_u64_u32 v[1:2], s[0:1], s3, v63, v[1:2]
	v_mad_u64_u32 v[2:3], s[0:1], s2, v66, 0
	v_add_co_u32_e64 v8, s[0:1], s12, v60
	v_addc_co_u32_e64 v9, s[0:1], v4, v61, s[0:1]
	v_mad_u64_u32 v[3:4], s[0:1], s3, v66, v[3:4]
	v_add_u32_e32 v6, 0x96, v63
	v_mad_u64_u32 v[4:5], s[0:1], s2, v6, 0
	v_lshlrev_b64 v[0:1], 4, v[0:1]
	v_add_u32_e32 v67, 0x64, v63
	v_add_co_u32_e64 v68, s[0:1], v8, v0
	v_addc_co_u32_e64 v69, s[0:1], v9, v1, s[0:1]
	v_lshlrev_b64 v[0:1], 4, v[2:3]
	v_mov_b32_e32 v2, v5
	v_mad_u64_u32 v[2:3], s[0:1], s3, v6, v[2:3]
	v_add_u32_e32 v3, 0xe1, v63
	v_mad_u64_u32 v[6:7], s[0:1], s2, v3, 0
	v_add_co_u32_e64 v70, s[0:1], v8, v0
	v_mov_b32_e32 v5, v2
	v_mov_b32_e32 v2, v7
	v_addc_co_u32_e64 v71, s[0:1], v9, v1, s[0:1]
	v_lshlrev_b64 v[0:1], 4, v[4:5]
	v_mad_u64_u32 v[2:3], s[0:1], s3, v3, v[2:3]
	v_add_u32_e32 v5, 0x12c, v63
	v_mad_u64_u32 v[3:4], s[0:1], s2, v5, 0
	v_add_co_u32_e64 v72, s[0:1], v8, v0
	v_mov_b32_e32 v7, v2
	v_mov_b32_e32 v2, v4
	v_addc_co_u32_e64 v73, s[0:1], v9, v1, s[0:1]
	v_mad_u64_u32 v[4:5], s[0:1], s3, v5, v[2:3]
	v_lshlrev_b64 v[0:1], 4, v[6:7]
	v_mad_u64_u32 v[5:6], s[0:1], s2, v65, 0
	v_add_co_u32_e64 v74, s[0:1], v8, v0
	v_mov_b32_e32 v2, v6
	v_addc_co_u32_e64 v75, s[0:1], v9, v1, s[0:1]
	v_lshlrev_b64 v[0:1], 4, v[3:4]
	v_mad_u64_u32 v[2:3], s[0:1], s3, v65, v[2:3]
	v_mad_u64_u32 v[3:4], s[0:1], s2, v67, 0
	v_add_co_u32_e64 v76, s[0:1], v8, v0
	v_mov_b32_e32 v6, v2
	v_mov_b32_e32 v2, v4
	v_addc_co_u32_e64 v77, s[0:1], v9, v1, s[0:1]
	v_lshlrev_b64 v[0:1], 4, v[5:6]
	v_mad_u64_u32 v[4:5], s[0:1], s3, v67, v[2:3]
	v_add_u32_e32 v7, 0xaf, v63
	v_mad_u64_u32 v[5:6], s[0:1], s2, v7, 0
	v_add_co_u32_e64 v78, s[0:1], v8, v0
	v_mov_b32_e32 v2, v6
	v_addc_co_u32_e64 v79, s[0:1], v9, v1, s[0:1]
	v_lshlrev_b64 v[0:1], 4, v[3:4]
	v_mad_u64_u32 v[2:3], s[0:1], s3, v7, v[2:3]
	v_add_u32_e32 v7, 0xfa, v63
	v_mad_u64_u32 v[3:4], s[0:1], s2, v7, 0
	v_add_co_u32_e64 v80, s[0:1], v8, v0
	v_mov_b32_e32 v6, v2
	v_mov_b32_e32 v2, v4
	v_addc_co_u32_e64 v81, s[0:1], v9, v1, s[0:1]
	v_lshlrev_b64 v[0:1], 4, v[5:6]
	v_mad_u64_u32 v[4:5], s[0:1], s3, v7, v[2:3]
	v_add_u32_e32 v7, 0x145, v63
	v_mad_u64_u32 v[5:6], s[0:1], s2, v7, 0
	v_add_co_u32_e64 v82, s[0:1], v8, v0
	v_mov_b32_e32 v2, v6
	v_addc_co_u32_e64 v83, s[0:1], v9, v1, s[0:1]
	v_lshlrev_b64 v[0:1], 4, v[3:4]
	v_mad_u64_u32 v[2:3], s[0:1], s3, v7, v[2:3]
	v_mad_u64_u32 v[3:4], s[0:1], s2, v64, 0
	v_add_co_u32_e64 v84, s[0:1], v8, v0
	v_mov_b32_e32 v6, v2
	v_mov_b32_e32 v2, v4
	v_addc_co_u32_e64 v85, s[0:1], v9, v1, s[0:1]
	v_lshlrev_b64 v[0:1], 4, v[5:6]
	v_mad_u64_u32 v[4:5], s[0:1], s3, v64, v[2:3]
	v_add_u32_e32 v7, 0x7d, v63
	v_mad_u64_u32 v[5:6], s[0:1], s2, v7, 0
	v_add_co_u32_e64 v86, s[0:1], v8, v0
	v_mov_b32_e32 v2, v6
	v_addc_co_u32_e64 v87, s[0:1], v9, v1, s[0:1]
	v_lshlrev_b64 v[0:1], 4, v[3:4]
	v_mad_u64_u32 v[2:3], s[0:1], s3, v7, v[2:3]
	v_add_u32_e32 v7, 0xc8, v63
	v_mad_u64_u32 v[3:4], s[0:1], s2, v7, 0
	v_add_co_u32_e64 v88, s[0:1], v8, v0
	v_mov_b32_e32 v6, v2
	v_mov_b32_e32 v2, v4
	v_addc_co_u32_e64 v89, s[0:1], v9, v1, s[0:1]
	v_lshlrev_b64 v[0:1], 4, v[5:6]
	v_mad_u64_u32 v[4:5], s[0:1], s3, v7, v[2:3]
	v_add_u32_e32 v7, 0x113, v63
	v_mad_u64_u32 v[5:6], s[0:1], s2, v7, 0
	v_add_co_u32_e64 v90, s[0:1], v8, v0
	v_mov_b32_e32 v2, v6
	v_addc_co_u32_e64 v91, s[0:1], v9, v1, s[0:1]
	v_lshlrev_b64 v[0:1], 4, v[3:4]
	v_mad_u64_u32 v[2:3], s[0:1], s3, v7, v[2:3]
	v_add_u32_e32 v7, 0x15e, v63
	v_mad_u64_u32 v[3:4], s[0:1], s2, v7, 0
	v_add_co_u32_e64 v92, s[0:1], v8, v0
	v_mov_b32_e32 v6, v2
	v_mov_b32_e32 v2, v4
	v_addc_co_u32_e64 v93, s[0:1], v9, v1, s[0:1]
	v_lshlrev_b64 v[0:1], 4, v[5:6]
	v_mad_u64_u32 v[4:5], s[0:1], s3, v7, v[2:3]
	v_add_co_u32_e64 v94, s[0:1], v8, v0
	v_addc_co_u32_e64 v95, s[0:1], v9, v1, s[0:1]
	v_lshlrev_b64 v[0:1], 4, v[3:4]
	v_add_co_u32_e64 v96, s[0:1], v8, v0
	v_addc_co_u32_e64 v97, s[0:1], v9, v1, s[0:1]
	global_load_dwordx4 v[56:59], v[68:69], off
	global_load_dwordx4 v[52:55], v[70:71], off
	;; [unrolled: 1-line block ×15, first 2 shown]
	v_mov_b32_e32 v69, v64
	v_mov_b32_e32 v68, v65
.LBB0_12:
	s_or_b64 exec, exec, s[4:5]
	s_waitcnt vmcnt(13)
	v_add_f64 v[78:79], v[52:53], v[56:57]
	v_add_f64 v[80:81], v[54:55], v[58:59]
	s_waitcnt vmcnt(11)
	v_add_f64 v[70:71], v[44:45], v[48:49]
	s_waitcnt vmcnt(10)
	v_add_f64 v[72:73], v[40:41], v[52:53]
	v_add_f64 v[74:75], v[46:47], v[50:51]
	;; [unrolled: 1-line block ×3, first 2 shown]
	v_add_f64 v[82:83], v[48:49], -v[52:53]
	v_add_f64 v[84:85], v[52:53], -v[40:41]
	v_add_f64 v[78:79], v[48:49], v[78:79]
	v_add_f64 v[80:81], v[50:51], v[80:81]
	v_fma_f64 v[70:71], v[70:71], -0.5, v[56:57]
	v_fma_f64 v[56:57], v[72:73], -0.5, v[56:57]
	;; [unrolled: 1-line block ×4, first 2 shown]
	v_add_f64 v[58:59], v[54:55], -v[42:43]
	v_add_f64 v[76:77], v[52:53], -v[48:49]
	;; [unrolled: 1-line block ×4, first 2 shown]
	v_add_f64 v[54:55], v[44:45], v[78:79]
	v_add_f64 v[78:79], v[46:47], v[80:81]
	v_add_f64 v[50:51], v[50:51], -v[46:47]
	v_add_f64 v[88:89], v[42:43], -v[46:47]
	;; [unrolled: 1-line block ×6, first 2 shown]
	v_add_f64 v[40:41], v[40:41], v[54:55]
	v_add_f64 v[78:79], v[42:43], v[78:79]
	s_waitcnt vmcnt(8)
	v_add_f64 v[42:43], v[32:33], v[36:37]
	v_add_f64 v[54:55], v[34:35], v[38:39]
	s_waitcnt vmcnt(6)
	v_add_f64 v[90:91], v[24:25], v[28:29]
	s_waitcnt vmcnt(5)
	v_add_f64 v[92:93], v[20:21], v[32:33]
	v_add_f64 v[94:95], v[26:27], v[30:31]
	;; [unrolled: 1-line block ×3, first 2 shown]
	v_add_f64 v[98:99], v[28:29], -v[32:33]
	v_add_f64 v[102:103], v[20:21], -v[24:25]
	v_add_f64 v[42:43], v[28:29], v[42:43]
	v_add_f64 v[54:55], v[30:31], v[54:55]
	v_fma_f64 v[90:91], v[90:91], -0.5, v[36:37]
	v_fma_f64 v[36:37], v[92:93], -0.5, v[36:37]
	;; [unrolled: 1-line block ×4, first 2 shown]
	v_add_f64 v[96:97], v[32:33], -v[28:29]
	v_add_f64 v[32:33], v[32:33], -v[20:21]
	v_add_f64 v[42:43], v[24:25], v[42:43]
	v_add_f64 v[54:55], v[26:27], v[54:55]
	v_add_f64 v[28:29], v[28:29], -v[24:25]
	v_add_f64 v[24:25], v[24:25], -v[20:21]
	;; [unrolled: 1-line block ×6, first 2 shown]
	v_add_f64 v[20:21], v[20:21], v[42:43]
	s_waitcnt vmcnt(3)
	v_add_f64 v[42:43], v[14:15], v[18:19]
	v_add_f64 v[104:105], v[22:23], -v[26:27]
	v_add_f64 v[26:27], v[26:27], -v[22:23]
	v_add_f64 v[114:115], v[22:23], v[54:55]
	v_add_f64 v[22:23], v[12:13], v[16:17]
	s_waitcnt vmcnt(1)
	v_add_f64 v[106:107], v[4:5], v[8:9]
	s_waitcnt vmcnt(0)
	v_add_f64 v[108:109], v[0:1], v[12:13]
	v_add_f64 v[110:111], v[6:7], v[10:11]
	;; [unrolled: 1-line block ×4, first 2 shown]
	v_add_f64 v[116:117], v[12:13], -v[0:1]
	v_add_f64 v[122:123], v[8:9], -v[4:5]
	v_add_f64 v[22:23], v[8:9], v[22:23]
	v_fma_f64 v[54:55], v[106:107], -0.5, v[16:17]
	v_fma_f64 v[16:17], v[108:109], -0.5, v[16:17]
	;; [unrolled: 1-line block ×4, first 2 shown]
	v_add_f64 v[110:111], v[12:13], -v[8:9]
	v_add_f64 v[112:113], v[8:9], -v[12:13]
	v_add_f64 v[12:13], v[6:7], v[42:43]
	v_add_f64 v[8:9], v[4:5], v[22:23]
	s_mov_b32 s0, 0xcccccccd
	v_mul_hi_u32 v22, v62, s0
	v_add_f64 v[18:19], v[14:15], -v[2:3]
	v_add_f64 v[124:125], v[2:3], -v[6:7]
	;; [unrolled: 1-line block ×3, first 2 shown]
	s_mov_b32 s4, 0x134454ff
	v_add_f64 v[128:129], v[2:3], v[12:13]
	v_lshrrev_b32_e32 v2, 2, v22
	v_lshl_add_u32 v2, v2, 2, v2
	s_mov_b32 s5, 0x3fee6f0e
	s_mov_b32 s11, 0xbfee6f0e
	;; [unrolled: 1-line block ×3, first 2 shown]
	v_sub_u32_e32 v42, v62, v2
	v_fma_f64 v[2:3], v[58:59], s[4:5], v[70:71]
	v_fma_f64 v[22:23], v[58:59], s[10:11], v[70:71]
	v_add_f64 v[118:119], v[14:15], -v[10:11]
	v_add_f64 v[120:121], v[10:11], -v[14:15]
	;; [unrolled: 1-line block ×4, first 2 shown]
	v_add_f64 v[0:1], v[0:1], v[8:9]
	v_fma_f64 v[8:9], v[50:51], s[10:11], v[56:57]
	v_fma_f64 v[12:13], v[50:51], s[4:5], v[56:57]
	s_mov_b32 s6, 0x4755a5e
	s_mov_b32 s7, 0x3fe2cf23
	;; [unrolled: 1-line block ×4, first 2 shown]
	v_add_f64 v[10:11], v[10:11], -v[6:7]
	v_add_f64 v[6:7], v[80:81], v[76:77]
	v_fma_f64 v[2:3], v[50:51], s[6:7], v[2:3]
	v_fma_f64 v[22:23], v[50:51], s[16:17], v[22:23]
	v_add_f64 v[43:44], v[44:45], v[82:83]
	v_fma_f64 v[8:9], v[58:59], s[6:7], v[8:9]
	v_fma_f64 v[12:13], v[58:59], s[16:17], v[12:13]
	s_mov_b32 s14, 0x372fe950
	s_mov_b32 s15, 0x3fd3c6ef
	v_mul_u32_u24_e32 v42, 0x177, v42
	v_fma_f64 v[2:3], v[6:7], s[14:15], v[2:3]
	v_fma_f64 v[6:7], v[6:7], s[14:15], v[22:23]
	;; [unrolled: 1-line block ×5, first 2 shown]
	v_lshlrev_b32_e32 v42, 3, v42
	v_add_u32_e32 v44, 0, v42
	v_mad_u32_u24 v43, v63, 40, v44
	v_fma_f64 v[50:51], v[94:95], s[4:5], v[90:91]
	ds_write2_b64 v43, v[40:41], v[2:3] offset1:1
	ds_write2_b64 v43, v[8:9], v[12:13] offset0:2 offset1:3
	v_fma_f64 v[2:3], v[30:31], s[4:5], v[36:37]
	v_add_f64 v[8:9], v[24:25], v[98:99]
	v_fma_f64 v[12:13], v[94:95], s[6:7], v[22:23]
	v_fma_f64 v[22:23], v[94:95], s[10:11], v[90:91]
	;; [unrolled: 1-line block ×7, first 2 shown]
	v_add_f64 v[14:15], v[14:15], v[110:111]
	v_add_f64 v[56:57], v[102:103], v[96:97]
	v_fma_f64 v[22:23], v[30:31], s[16:17], v[22:23]
	v_fma_f64 v[24:25], v[10:11], s[6:7], v[24:25]
	;; [unrolled: 1-line block ×5, first 2 shown]
	v_add_f64 v[4:5], v[4:5], v[112:113]
	v_fma_f64 v[16:17], v[18:19], s[16:17], v[16:17]
	v_fma_f64 v[10:11], v[10:11], s[16:17], v[40:41]
	v_add_f64 v[40:41], v[88:89], v[52:53]
	v_fma_f64 v[18:19], v[14:15], s[14:15], v[24:25]
	ds_write_b64 v43, v[6:7] offset:32
	v_fma_f64 v[24:25], v[48:49], s[16:17], v[36:37]
	v_fma_f64 v[6:7], v[56:57], s[14:15], v[50:51]
	;; [unrolled: 1-line block ×12, first 2 shown]
	v_mad_i32_i24 v80, v68, 40, v44
	v_mad_i32_i24 v81, v69, 40, v44
	ds_write2_b64 v80, v[20:21], v[6:7] offset1:1
	ds_write2_b64 v80, v[12:13], v[2:3] offset0:2 offset1:3
	ds_write_b64 v80, v[8:9] offset:32
	ds_write2_b64 v81, v[0:1], v[18:19] offset1:1
	v_lshlrev_b32_e32 v0, 3, v63
	v_add_u32_e32 v54, v44, v0
	v_add3_u32 v56, 0, v0, v42
	v_lshlrev_b32_e32 v0, 5, v68
	v_fma_f64 v[36:37], v[48:49], s[6:7], v[36:37]
	v_add_f64 v[45:46], v[46:47], v[86:87]
	v_fma_f64 v[47:48], v[84:85], s[16:17], v[70:71]
	v_fma_f64 v[70:71], v[84:85], s[6:7], v[72:73]
	v_add_u32_e32 v58, 0x800, v56
	v_sub_u32_e32 v57, v80, v0
	v_lshlrev_b32_e32 v0, 5, v69
	ds_write2_b64 v81, v[22:23], v[4:5] offset0:2 offset1:3
	ds_write_b64 v81, v[10:11] offset:32
	s_waitcnt lgkmcnt(0)
	s_barrier
	v_lshl_add_u32 v55, v66, 3, v44
	v_lshl_add_u32 v59, v67, 3, v44
	v_sub_u32_e32 v62, v81, v0
	ds_read_b64 v[12:13], v54
	ds_read_b64 v[16:17], v55
	ds_read_b64 v[10:11], v57
	ds_read_b64 v[14:15], v59
	ds_read_b64 v[8:9], v62
	ds_read2_b64 v[18:21], v56 offset0:125 offset1:150
	ds_read2_b64 v[22:25], v56 offset0:225 offset1:250
	;; [unrolled: 1-line block ×5, first 2 shown]
	s_waitcnt lgkmcnt(0)
	s_barrier
	ds_write2_b64 v43, v[78:79], v[30:31] offset1:1
	v_fma_f64 v[30:31], v[32:33], s[10:11], v[92:93]
	v_fma_f64 v[72:73], v[32:33], s[4:5], v[92:93]
	;; [unrolled: 1-line block ×7, first 2 shown]
	v_add_f64 v[26:27], v[26:27], v[34:35]
	v_fma_f64 v[30:31], v[28:29], s[16:17], v[30:31]
	v_fma_f64 v[28:29], v[28:29], s[6:7], v[72:73]
	;; [unrolled: 1-line block ×6, first 2 shown]
	v_add_f64 v[47:48], v[104:105], v[100:101]
	v_fma_f64 v[70:71], v[32:33], s[16:17], v[70:71]
	v_fma_f64 v[32:33], v[32:33], s[6:7], v[38:39]
	v_add_f64 v[38:39], v[124:125], v[118:119]
	v_add_f64 v[78:79], v[126:127], v[120:121]
	v_fma_f64 v[34:35], v[116:117], s[16:17], v[34:35]
	v_fma_f64 v[72:73], v[122:123], s[16:17], v[72:73]
	;; [unrolled: 1-line block ×12, first 2 shown]
	s_movk_i32 s0, 0xcd
	ds_write2_b64 v43, v[40:41], v[45:46] offset0:2 offset1:3
	ds_write_b64 v43, v[36:37] offset:32
	ds_write2_b64 v80, v[114:115], v[30:31] offset1:1
	ds_write2_b64 v80, v[47:48], v[26:27] offset0:2 offset1:3
	ds_write_b64 v80, v[28:29] offset:32
	ds_write2_b64 v81, v[128:129], v[34:35] offset1:1
	ds_write2_b64 v81, v[32:33], v[70:71] offset0:2 offset1:3
	ds_write_b64 v81, v[38:39] offset:32
	v_mul_lo_u16_sdwa v26, v63, s0 dst_sel:DWORD dst_unused:UNUSED_PAD src0_sel:BYTE_0 src1_sel:DWORD
	v_mul_lo_u16_sdwa v30, v68, s0 dst_sel:DWORD dst_unused:UNUSED_PAD src0_sel:BYTE_0 src1_sel:DWORD
	v_lshrrev_b16_e32 v49, 10, v26
	v_lshrrev_b16_e32 v47, 10, v30
	v_mul_lo_u16_e32 v26, 5, v49
	v_mul_lo_u16_e32 v30, 5, v47
	v_sub_u16_e32 v48, v63, v26
	v_mov_b32_e32 v34, 6
	v_sub_u16_e32 v46, v68, v30
	v_lshlrev_b32_sdwa v35, v34, v48 dst_sel:DWORD dst_unused:UNUSED_PAD src0_sel:DWORD src1_sel:BYTE_0
	v_lshlrev_b32_sdwa v36, v34, v46 dst_sel:DWORD dst_unused:UNUSED_PAD src0_sel:DWORD src1_sel:BYTE_0
	s_waitcnt lgkmcnt(0)
	s_barrier
	global_load_dwordx4 v[26:29], v35, s[8:9] offset:32
	global_load_dwordx4 v[30:33], v36, s[8:9] offset:32
	;; [unrolled: 1-line block ×3, first 2 shown]
	v_mul_lo_u16_sdwa v37, v69, s0 dst_sel:DWORD dst_unused:UNUSED_PAD src0_sel:BYTE_0 src1_sel:DWORD
	v_lshrrev_b16_e32 v43, 10, v37
	v_mul_lo_u16_e32 v37, 5, v43
	v_sub_u16_e32 v45, v69, v37
	v_lshlrev_b32_sdwa v34, v34, v45 dst_sel:DWORD dst_unused:UNUSED_PAD src0_sel:DWORD src1_sel:BYTE_0
	global_load_dwordx4 v[74:77], v34, s[8:9]
	global_load_dwordx4 v[78:81], v36, s[8:9] offset:16
	global_load_dwordx4 v[82:85], v34, s[8:9] offset:16
	;; [unrolled: 1-line block ×5, first 2 shown]
	global_load_dwordx4 v[98:101], v35, s[8:9]
	global_load_dwordx4 v[102:105], v34, s[8:9] offset:48
	global_load_dwordx4 v[106:109], v36, s[8:9]
	ds_read2_b64 v[34:37], v56 offset0:225 offset1:250
	ds_read2_b64 v[110:113], v56 offset0:125 offset1:150
	ds_read2_b64 v[114:117], v56 offset0:175 offset1:200
	s_movk_i32 s0, 0xc8
	v_mad_u32_u24 v47, v47, s0, 0
	s_waitcnt vmcnt(11) lgkmcnt(2)
	v_mul_f64 v[38:39], v[34:35], v[28:29]
	v_mul_f64 v[28:29], v[22:23], v[28:29]
	s_waitcnt vmcnt(10)
	v_mul_f64 v[40:41], v[36:37], v[32:33]
	v_mul_f64 v[32:33], v[24:25], v[32:33]
	s_waitcnt vmcnt(9) lgkmcnt(1)
	v_mul_f64 v[118:119], v[112:113], v[72:73]
	v_fma_f64 v[38:39], v[22:23], v[26:27], -v[38:39]
	v_fma_f64 v[34:35], v[34:35], v[26:27], v[28:29]
	v_fma_f64 v[28:29], v[24:25], v[30:31], -v[40:41]
	v_fma_f64 v[26:27], v[36:37], v[30:31], v[32:33]
	v_mul_f64 v[22:23], v[20:21], v[72:73]
	v_fma_f64 v[40:41], v[20:21], v[70:71], -v[118:119]
	s_waitcnt vmcnt(8)
	v_mul_f64 v[20:21], v[110:111], v[76:77]
	v_mul_f64 v[24:25], v[18:19], v[76:77]
	ds_read2_b64 v[118:121], v58 offset0:19 offset1:44
	s_waitcnt vmcnt(7) lgkmcnt(1)
	v_mul_f64 v[30:31], v[114:115], v[80:81]
	s_waitcnt vmcnt(6)
	v_mul_f64 v[76:77], v[116:117], v[84:85]
	v_mul_f64 v[72:73], v[50:51], v[80:81]
	;; [unrolled: 1-line block ×3, first 2 shown]
	s_waitcnt vmcnt(5) lgkmcnt(0)
	v_mul_f64 v[84:85], v[120:121], v[88:89]
	v_fma_f64 v[36:37], v[112:113], v[70:71], v[22:23]
	v_fma_f64 v[22:23], v[18:19], v[74:75], -v[20:21]
	v_fma_f64 v[18:19], v[110:111], v[74:75], v[24:25]
	v_fma_f64 v[32:33], v[50:51], v[78:79], -v[30:31]
	v_fma_f64 v[24:25], v[52:53], v[82:83], -v[76:77]
	ds_read2_b64 v[50:53], v58 offset0:69 offset1:94
	ds_read_b64 v[76:77], v55
	v_fma_f64 v[30:31], v[114:115], v[78:79], v[72:73]
	v_fma_f64 v[70:71], v[6:7], v[86:87], -v[84:85]
	v_mul_f64 v[6:7], v[6:7], v[88:89]
	s_waitcnt vmcnt(4)
	v_mul_f64 v[72:73], v[118:119], v[92:93]
	s_waitcnt vmcnt(3) lgkmcnt(1)
	v_mul_f64 v[78:79], v[50:51], v[96:97]
	s_waitcnt vmcnt(2) lgkmcnt(0)
	v_mul_f64 v[88:89], v[76:77], v[100:101]
	v_mul_f64 v[74:75], v[4:5], v[92:93]
	;; [unrolled: 1-line block ×3, first 2 shown]
	v_fma_f64 v[20:21], v[116:117], v[82:83], v[80:81]
	ds_read_b64 v[80:81], v59
	ds_read_b64 v[82:83], v57
	ds_read_b64 v[84:85], v54
	s_waitcnt vmcnt(1)
	v_mul_f64 v[96:97], v[52:53], v[104:105]
	v_fma_f64 v[110:111], v[4:5], v[90:91], -v[72:73]
	v_mul_f64 v[4:5], v[16:17], v[100:101]
	v_fma_f64 v[78:79], v[0:1], v[94:95], -v[78:79]
	v_fma_f64 v[0:1], v[16:17], v[98:99], -v[88:89]
	v_fma_f64 v[86:87], v[120:121], v[86:87], v[6:7]
	v_fma_f64 v[88:89], v[50:51], v[94:95], v[92:93]
	v_add_f64 v[6:7], v[40:41], v[38:39]
	v_fma_f64 v[74:75], v[118:119], v[90:91], v[74:75]
	v_fma_f64 v[90:91], v[2:3], v[102:103], -v[96:97]
	v_fma_f64 v[76:77], v[76:77], v[98:99], v[4:5]
	s_waitcnt vmcnt(0) lgkmcnt(2)
	v_mul_f64 v[4:5], v[80:81], v[108:109]
	v_add_f64 v[94:95], v[0:1], v[70:71]
	v_mul_f64 v[2:3], v[2:3], v[104:105]
	v_mul_f64 v[16:17], v[14:15], v[108:109]
	v_add_f64 v[50:51], v[12:13], v[0:1]
	v_add_f64 v[72:73], v[0:1], -v[40:41]
	v_add_f64 v[92:93], v[70:71], -v[38:39]
	v_fma_f64 v[6:7], v[6:7], -0.5, v[12:13]
	v_add_f64 v[96:97], v[76:77], -v[86:87]
	v_fma_f64 v[98:99], v[14:15], v[106:107], -v[4:5]
	v_add_f64 v[4:5], v[36:37], -v[34:35]
	v_fma_f64 v[12:13], v[94:95], -0.5, v[12:13]
	v_fma_f64 v[52:53], v[52:53], v[102:103], v[2:3]
	v_add_f64 v[2:3], v[50:51], v[40:41]
	v_fma_f64 v[80:81], v[80:81], v[106:107], v[16:17]
	v_add_f64 v[14:15], v[72:73], v[92:93]
	v_fma_f64 v[16:17], v[96:97], s[4:5], v[6:7]
	v_mad_u32_u24 v51, v49, s0, 0
	v_add_f64 v[49:50], v[40:41], -v[0:1]
	v_add_f64 v[72:73], v[38:39], -v[70:71]
	v_fma_f64 v[92:93], v[4:5], s[10:11], v[12:13]
	v_fma_f64 v[12:13], v[4:5], s[4:5], v[12:13]
	v_mov_b32_e32 v100, 3
	v_lshlrev_b32_sdwa v48, v100, v48 dst_sel:DWORD dst_unused:UNUSED_PAD src0_sel:DWORD src1_sel:BYTE_0
	v_add_f64 v[2:3], v[2:3], v[38:39]
	v_fma_f64 v[16:17], v[4:5], s[6:7], v[16:17]
	v_add3_u32 v106, v51, v48, v42
	v_add_f64 v[48:49], v[49:50], v[72:73]
	v_fma_f64 v[50:51], v[96:97], s[6:7], v[92:93]
	v_fma_f64 v[12:13], v[96:97], s[16:17], v[12:13]
	;; [unrolled: 1-line block ×3, first 2 shown]
	v_add_f64 v[72:73], v[32:33], v[28:29]
	v_add_f64 v[2:3], v[2:3], v[70:71]
	v_fma_f64 v[16:17], v[14:15], s[14:15], v[16:17]
	ds_read_b64 v[92:93], v62
	s_waitcnt lgkmcnt(0)
	v_fma_f64 v[50:51], v[48:49], s[14:15], v[50:51]
	v_fma_f64 v[12:13], v[48:49], s[14:15], v[12:13]
	v_add_f64 v[48:49], v[98:99], v[78:79]
	s_barrier
	ds_write2_b64 v106, v[2:3], v[16:17] offset1:5
	v_fma_f64 v[2:3], v[4:5], s[16:17], v[6:7]
	v_add_f64 v[4:5], v[10:11], v[98:99]
	v_fma_f64 v[6:7], v[72:73], -0.5, v[10:11]
	v_add_f64 v[16:17], v[80:81], -v[88:89]
	ds_write2_b64 v106, v[50:51], v[12:13] offset0:10 offset1:15
	v_add_f64 v[12:13], v[30:31], -v[26:27]
	v_fma_f64 v[10:11], v[48:49], -0.5, v[10:11]
	v_add_f64 v[48:49], v[98:99], -v[32:33]
	v_add_f64 v[50:51], v[78:79], -v[28:29]
	v_fma_f64 v[2:3], v[14:15], s[14:15], v[2:3]
	v_add_f64 v[4:5], v[4:5], v[32:33]
	v_fma_f64 v[14:15], v[16:17], s[4:5], v[6:7]
	v_add_f64 v[72:73], v[32:33], -v[98:99]
	v_add_f64 v[94:95], v[28:29], -v[78:79]
	v_fma_f64 v[96:97], v[12:13], s[10:11], v[10:11]
	v_fma_f64 v[10:11], v[12:13], s[4:5], v[10:11]
	v_add_f64 v[48:49], v[48:49], v[50:51]
	ds_write_b64 v106, v[2:3] offset:160
	v_add_f64 v[2:3], v[4:5], v[28:29]
	v_fma_f64 v[4:5], v[12:13], s[6:7], v[14:15]
	v_fma_f64 v[6:7], v[16:17], s[10:11], v[6:7]
	v_add_f64 v[14:15], v[72:73], v[94:95]
	v_fma_f64 v[50:51], v[16:17], s[6:7], v[96:97]
	v_fma_f64 v[10:11], v[16:17], s[16:17], v[10:11]
	v_lshlrev_b32_sdwa v16, v100, v46 dst_sel:DWORD dst_unused:UNUSED_PAD src0_sel:DWORD src1_sel:BYTE_0
	v_add3_u32 v107, v47, v16, v42
	v_add_f64 v[2:3], v[2:3], v[78:79]
	v_fma_f64 v[4:5], v[48:49], s[14:15], v[4:5]
	v_add_f64 v[16:17], v[24:25], v[110:111]
	v_fma_f64 v[6:7], v[12:13], s[16:17], v[6:7]
	v_fma_f64 v[46:47], v[14:15], s[14:15], v[50:51]
	;; [unrolled: 1-line block ×3, first 2 shown]
	v_add_f64 v[14:15], v[8:9], v[22:23]
	v_add_f64 v[72:73], v[22:23], v[90:91]
	ds_write2_b64 v107, v[2:3], v[4:5] offset1:5
	ds_write2_b64 v107, v[46:47], v[10:11] offset0:10 offset1:15
	v_add_f64 v[46:47], v[110:111], -v[90:91]
	v_add_f64 v[4:5], v[14:15], v[24:25]
	v_add_f64 v[14:15], v[24:25], -v[22:23]
	v_fma_f64 v[16:17], v[16:17], -0.5, v[8:9]
	v_fma_f64 v[2:3], v[48:49], s[14:15], v[6:7]
	v_add_f64 v[6:7], v[20:21], -v[74:75]
	v_fma_f64 v[8:9], v[72:73], -0.5, v[8:9]
	v_add_f64 v[94:95], v[18:19], -v[52:53]
	v_add_f64 v[12:13], v[22:23], -v[24:25]
	;; [unrolled: 1-line block ×3, first 2 shown]
	v_add_f64 v[14:15], v[14:15], v[46:47]
	v_add_f64 v[46:47], v[0:1], -v[70:71]
	v_add_f64 v[0:1], v[84:85], v[76:77]
	ds_write_b64 v107, v[2:3] offset:160
	v_add_f64 v[2:3], v[4:5], v[110:111]
	v_add_f64 v[4:5], v[36:37], v[34:35]
	v_fma_f64 v[48:49], v[6:7], s[10:11], v[8:9]
	v_fma_f64 v[8:9], v[6:7], s[4:5], v[8:9]
	v_add_f64 v[10:11], v[12:13], v[50:51]
	v_fma_f64 v[12:13], v[94:95], s[4:5], v[16:17]
	v_add_f64 v[0:1], v[0:1], v[36:37]
	;; [unrolled: 2-line block ×3, first 2 shown]
	v_fma_f64 v[70:71], v[4:5], -0.5, v[84:85]
	v_fma_f64 v[4:5], v[94:95], s[6:7], v[48:49]
	v_fma_f64 v[8:9], v[94:95], s[16:17], v[8:9]
	v_add_f64 v[94:95], v[40:41], -v[38:39]
	v_fma_f64 v[12:13], v[6:7], s[6:7], v[12:13]
	v_add_f64 v[0:1], v[0:1], v[34:35]
	v_fma_f64 v[6:7], v[6:7], s[16:17], v[16:17]
	v_add_f64 v[16:17], v[76:77], -v[36:37]
	v_add_f64 v[38:39], v[86:87], -v[34:35]
	v_fma_f64 v[4:5], v[14:15], s[14:15], v[4:5]
	v_fma_f64 v[8:9], v[14:15], s[14:15], v[8:9]
	v_lshlrev_b32_sdwa v14, v100, v45 dst_sel:DWORD dst_unused:UNUSED_PAD src0_sel:DWORD src1_sel:BYTE_0
	v_mad_u32_u24 v15, v43, s0, 0
	v_fma_f64 v[40:41], v[46:47], s[10:11], v[70:71]
	v_add3_u32 v108, v15, v14, v42
	v_add_f64 v[42:43], v[0:1], v[86:87]
	v_add_f64 v[0:1], v[76:77], v[86:87]
	v_fma_f64 v[12:13], v[10:11], s[14:15], v[12:13]
	v_fma_f64 v[6:7], v[10:11], s[14:15], v[6:7]
	v_add_f64 v[96:97], v[16:17], v[38:39]
	v_fma_f64 v[104:105], v[46:47], s[4:5], v[70:71]
	v_fma_f64 v[10:11], v[94:95], s[16:17], v[40:41]
	v_add_f64 v[36:37], v[36:37], -v[76:77]
	v_add_f64 v[34:35], v[34:35], -v[86:87]
	v_fma_f64 v[84:85], v[0:1], -0.5, v[84:85]
	ds_write2_b64 v108, v[2:3], v[12:13] offset1:5
	ds_write2_b64 v108, v[4:5], v[8:9] offset0:10 offset1:15
	ds_write_b64 v108, v[6:7] offset:160
	s_waitcnt lgkmcnt(0)
	s_barrier
	v_fma_f64 v[86:87], v[94:95], s[6:7], v[104:105]
	v_fma_f64 v[100:101], v[96:97], s[14:15], v[10:11]
	ds_read_b64 v[10:11], v54
	ds_read_b64 v[102:103], v55
	ds_read_b64 v[6:7], v57
	ds_read_b64 v[8:9], v59
	ds_read_b64 v[4:5], v62
	ds_read2_b64 v[13:16], v56 offset0:125 offset1:150
	ds_read2_b64 v[38:41], v56 offset0:225 offset1:250
	v_fma_f64 v[76:77], v[94:95], s[4:5], v[84:85]
	v_fma_f64 v[84:85], v[94:95], s[10:11], v[84:85]
	v_add_f64 v[94:95], v[30:31], v[26:27]
	ds_read2_b64 v[48:51], v58 offset0:19 offset1:44
	ds_read2_b64 v[70:73], v56 offset0:175 offset1:200
	;; [unrolled: 1-line block ×3, first 2 shown]
	s_waitcnt lgkmcnt(0)
	s_barrier
	ds_write2_b64 v106, v[42:43], v[100:101] offset1:5
	v_add_f64 v[34:35], v[36:37], v[34:35]
	v_fma_f64 v[36:37], v[46:47], s[16:17], v[76:77]
	v_fma_f64 v[42:43], v[46:47], s[6:7], v[84:85]
	v_add_f64 v[76:77], v[80:81], v[88:89]
	v_fma_f64 v[84:85], v[94:95], -0.5, v[82:83]
	v_add_f64 v[94:95], v[82:83], v[80:81]
	v_add_f64 v[78:79], v[98:99], -v[78:79]
	v_fma_f64 v[45:46], v[96:97], s[14:15], v[86:87]
	v_add_f64 v[86:87], v[80:81], -v[30:31]
	v_add_f64 v[96:97], v[88:89], -v[26:27]
	;; [unrolled: 1-line block ×3, first 2 shown]
	v_fma_f64 v[32:33], v[76:77], -0.5, v[82:83]
	v_fma_f64 v[36:37], v[34:35], s[14:15], v[36:37]
	v_add_f64 v[82:83], v[94:95], v[30:31]
	v_fma_f64 v[34:35], v[34:35], s[14:15], v[42:43]
	v_fma_f64 v[42:43], v[78:79], s[10:11], v[84:85]
	;; [unrolled: 1-line block ×3, first 2 shown]
	v_add_f64 v[84:85], v[86:87], v[96:97]
	v_add_f64 v[30:31], v[30:31], -v[80:81]
	v_add_f64 v[80:81], v[26:27], -v[88:89]
	v_fma_f64 v[86:87], v[28:29], s[4:5], v[32:33]
	v_fma_f64 v[32:33], v[28:29], s[10:11], v[32:33]
	v_add_f64 v[26:27], v[82:83], v[26:27]
	v_add_f64 v[82:83], v[20:21], v[74:75]
	v_fma_f64 v[42:43], v[28:29], s[16:17], v[42:43]
	v_fma_f64 v[28:29], v[28:29], s[6:7], v[76:77]
	v_add_f64 v[76:77], v[18:19], v[52:53]
	v_add_f64 v[30:31], v[30:31], v[80:81]
	v_fma_f64 v[80:81], v[78:79], s[16:17], v[86:87]
	v_fma_f64 v[32:33], v[78:79], s[6:7], v[32:33]
	v_add_f64 v[78:79], v[92:93], v[18:19]
	v_add_f64 v[22:23], v[22:23], -v[90:91]
	v_fma_f64 v[82:83], v[82:83], -0.5, v[92:93]
	v_add_f64 v[24:25], v[24:25], -v[110:111]
	v_fma_f64 v[76:77], v[76:77], -0.5, v[92:93]
	v_add_f64 v[26:27], v[26:27], v[88:89]
	v_add_f64 v[86:87], v[18:19], -v[20:21]
	v_add_f64 v[88:89], v[52:53], -v[74:75]
	v_add_f64 v[78:79], v[78:79], v[20:21]
	v_add_f64 v[17:18], v[20:21], -v[18:19]
	v_fma_f64 v[92:93], v[22:23], s[10:11], v[82:83]
	v_add_f64 v[19:20], v[74:75], -v[52:53]
	v_fma_f64 v[90:91], v[24:25], s[4:5], v[76:77]
	v_fma_f64 v[76:77], v[24:25], s[10:11], v[76:77]
	v_fma_f64 v[82:83], v[22:23], s[4:5], v[82:83]
	v_add_f64 v[86:87], v[86:87], v[88:89]
	v_add_f64 v[74:75], v[78:79], v[74:75]
	v_fma_f64 v[42:43], v[84:85], s[14:15], v[42:43]
	v_fma_f64 v[78:79], v[24:25], s[16:17], v[92:93]
	v_add_f64 v[17:18], v[17:18], v[19:20]
	v_fma_f64 v[19:20], v[22:23], s[16:17], v[90:91]
	v_fma_f64 v[21:22], v[22:23], s[6:7], v[76:77]
	;; [unrolled: 1-line block ×6, first 2 shown]
	v_add_f64 v[32:33], v[74:75], v[52:53]
	v_fma_f64 v[52:53], v[86:87], s[14:15], v[78:79]
	v_fma_f64 v[19:20], v[17:18], s[14:15], v[19:20]
	;; [unrolled: 1-line block ×4, first 2 shown]
	ds_write2_b64 v106, v[36:37], v[34:35] offset0:10 offset1:15
	ds_write_b64 v106, v[45:46] offset:160
	ds_write2_b64 v107, v[26:27], v[42:43] offset1:5
	ds_write2_b64 v107, v[76:77], v[30:31] offset0:10 offset1:15
	ds_write_b64 v107, v[28:29] offset:160
	ds_write2_b64 v108, v[32:33], v[52:53] offset1:5
	ds_write2_b64 v108, v[19:20], v[17:18] offset0:10 offset1:15
	ds_write_b64 v108, v[21:22] offset:160
	v_lshlrev_b32_e32 v20, 2, v63
	v_mov_b32_e32 v21, 0
	v_lshlrev_b64 v[17:18], 4, v[20:21]
	v_mov_b32_e32 v12, s9
	v_add_co_u32_e64 v22, s[0:1], s8, v17
	v_addc_co_u32_e64 v23, s[0:1], v12, v18, s[0:1]
	s_waitcnt lgkmcnt(0)
	s_barrier
	global_load_dwordx4 v[17:20], v[22:23], off offset:352
	global_load_dwordx4 v[24:27], v[22:23], off offset:336
	v_mov_b32_e32 v12, 41
	v_mul_lo_u16_sdwa v12, v69, v12 dst_sel:DWORD dst_unused:UNUSED_PAD src0_sel:BYTE_0 src1_sel:DWORD
	v_lshrrev_b16_e32 v12, 10, v12
	v_mul_lo_u16_e32 v12, 25, v12
	v_sub_u16_e32 v12, v69, v12
	v_and_b32_e32 v12, 0xff, v12
	v_lshlrev_b32_e32 v28, 6, v12
	global_load_dwordx4 v[34:37], v28, s[8:9] offset:320
	global_load_dwordx4 v[74:77], v28, s[8:9] offset:336
	global_load_dwordx4 v[78:81], v[22:23], off offset:368
	global_load_dwordx4 v[82:85], v[22:23], off offset:320
	global_load_dwordx4 v[86:89], v28, s[8:9] offset:352
	global_load_dwordx4 v[90:93], v28, s[8:9] offset:368
	ds_read2_b64 v[28:31], v56 offset0:225 offset1:250
	ds_read2_b64 v[94:97], v56 offset0:125 offset1:150
	s_waitcnt vmcnt(7) lgkmcnt(1)
	v_mul_f64 v[22:23], v[28:29], v[19:20]
	v_mul_f64 v[32:33], v[30:31], v[19:20]
	;; [unrolled: 1-line block ×4, first 2 shown]
	s_waitcnt vmcnt(6)
	v_mul_f64 v[52:53], v[70:71], v[26:27]
	v_fma_f64 v[38:39], v[38:39], v[17:18], -v[22:23]
	v_fma_f64 v[32:33], v[40:41], v[17:18], -v[32:33]
	v_fma_f64 v[40:41], v[28:29], v[17:18], v[42:43]
	v_fma_f64 v[30:31], v[30:31], v[17:18], v[19:20]
	ds_read2_b64 v[17:20], v56 offset0:175 offset1:200
	s_waitcnt lgkmcnt(1)
	v_mul_f64 v[22:23], v[96:97], v[26:27]
	s_waitcnt vmcnt(5)
	v_mul_f64 v[28:29], v[94:95], v[36:37]
	v_mul_f64 v[36:37], v[13:14], v[36:37]
	;; [unrolled: 1-line block ×3, first 2 shown]
	s_waitcnt lgkmcnt(0)
	v_mul_f64 v[45:46], v[17:18], v[26:27]
	s_waitcnt vmcnt(4)
	v_mul_f64 v[98:99], v[19:20], v[76:77]
	v_mul_f64 v[76:77], v[72:73], v[76:77]
	v_fma_f64 v[100:101], v[15:16], v[24:25], -v[22:23]
	v_fma_f64 v[26:27], v[13:14], v[34:35], -v[28:29]
	v_fma_f64 v[22:23], v[94:95], v[34:35], v[36:37]
	v_fma_f64 v[42:43], v[96:97], v[24:25], v[42:43]
	v_fma_f64 v[36:37], v[70:71], v[24:25], -v[45:46]
	ds_read2_b64 v[13:16], v58 offset0:19 offset1:44
	ds_read_b64 v[45:46], v55
	v_fma_f64 v[34:35], v[17:18], v[24:25], v[52:53]
	v_fma_f64 v[28:29], v[72:73], v[74:75], -v[98:99]
	v_fma_f64 v[24:25], v[19:20], v[74:75], v[76:77]
	s_waitcnt vmcnt(3)
	v_mul_f64 v[52:53], v[50:51], v[80:81]
	s_waitcnt vmcnt(2) lgkmcnt(0)
	v_mul_f64 v[76:77], v[45:46], v[84:85]
	v_mul_f64 v[94:95], v[102:103], v[84:85]
	s_waitcnt vmcnt(1)
	v_mul_f64 v[96:97], v[13:14], v[88:89]
	v_mul_f64 v[88:89], v[48:49], v[88:89]
	;; [unrolled: 1-line block ×3, first 2 shown]
	ds_read_b64 v[70:71], v59
	ds_read_b64 v[72:73], v57
	;; [unrolled: 1-line block ×3, first 2 shown]
	ds_read2_b64 v[17:20], v58 offset0:69 offset1:94
	v_fma_f64 v[104:105], v[15:16], v[78:79], v[52:53]
	v_fma_f64 v[52:53], v[102:103], v[82:83], -v[76:77]
	v_add_f64 v[76:77], v[100:101], v[38:39]
	v_fma_f64 v[94:95], v[45:46], v[82:83], v[94:95]
	s_waitcnt lgkmcnt(0)
	v_mul_f64 v[15:16], v[17:18], v[80:81]
	v_mul_f64 v[45:46], v[0:1], v[80:81]
	v_fma_f64 v[80:81], v[48:49], v[86:87], -v[96:97]
	v_fma_f64 v[48:49], v[13:14], v[86:87], v[88:89]
	v_fma_f64 v[13:14], v[50:51], v[78:79], -v[98:99]
	v_add_f64 v[98:99], v[42:43], -v[40:41]
	v_mul_f64 v[102:103], v[70:71], v[84:85]
	v_add_f64 v[50:51], v[94:95], -v[104:105]
	v_fma_f64 v[86:87], v[0:1], v[78:79], -v[15:16]
	v_fma_f64 v[15:16], v[76:77], -0.5, v[10:11]
	v_fma_f64 v[76:77], v[17:18], v[78:79], v[45:46]
	s_waitcnt vmcnt(0)
	v_mul_f64 v[17:18], v[19:20], v[92:93]
	v_add_f64 v[88:89], v[52:53], v[13:14]
	v_mul_f64 v[45:46], v[2:3], v[92:93]
	v_add_f64 v[78:79], v[52:53], -v[100:101]
	v_add_f64 v[92:93], v[13:14], -v[38:39]
	v_add_f64 v[0:1], v[10:11], v[52:53]
	v_fma_f64 v[96:97], v[50:51], s[4:5], v[15:16]
	v_fma_f64 v[15:16], v[50:51], s[10:11], v[15:16]
	v_fma_f64 v[106:107], v[2:3], v[90:91], -v[17:18]
	v_fma_f64 v[2:3], v[88:89], -0.5, v[10:11]
	v_fma_f64 v[90:91], v[19:20], v[90:91], v[45:46]
	v_mul_f64 v[10:11], v[8:9], v[84:85]
	v_add_f64 v[17:18], v[78:79], v[92:93]
	v_fma_f64 v[78:79], v[8:9], v[82:83], -v[102:103]
	v_fma_f64 v[19:20], v[98:99], s[6:7], v[96:97]
	v_add_f64 v[8:9], v[100:101], -v[52:53]
	v_add_f64 v[45:46], v[38:39], -v[13:14]
	v_fma_f64 v[84:85], v[98:99], s[10:11], v[2:3]
	v_fma_f64 v[2:3], v[98:99], s[4:5], v[2:3]
	;; [unrolled: 1-line block ×3, first 2 shown]
	v_add_f64 v[0:1], v[0:1], v[100:101]
	v_add_f64 v[88:89], v[6:7], v[78:79]
	v_fma_f64 v[10:11], v[17:18], s[14:15], v[19:20]
	v_fma_f64 v[15:16], v[98:99], s[16:17], v[15:16]
	v_add_f64 v[8:9], v[8:9], v[45:46]
	v_fma_f64 v[19:20], v[50:51], s[6:7], v[84:85]
	v_fma_f64 v[2:3], v[50:51], s[16:17], v[2:3]
	v_add_f64 v[45:46], v[36:37], v[32:33]
	v_add_f64 v[84:85], v[78:79], v[86:87]
	;; [unrolled: 1-line block ×3, first 2 shown]
	v_add_f64 v[50:51], v[34:35], -v[30:31]
	v_add_f64 v[92:93], v[86:87], -v[32:33]
	;; [unrolled: 1-line block ×3, first 2 shown]
	v_fma_f64 v[19:20], v[8:9], s[14:15], v[19:20]
	v_fma_f64 v[2:3], v[8:9], s[14:15], v[2:3]
	v_fma_f64 v[8:9], v[45:46], -0.5, v[6:7]
	v_add_f64 v[45:46], v[70:71], -v[76:77]
	v_fma_f64 v[6:7], v[84:85], -0.5, v[6:7]
	v_add_f64 v[84:85], v[88:89], v[36:37]
	v_add_f64 v[88:89], v[78:79], -v[36:37]
	v_add_f64 v[0:1], v[0:1], v[13:14]
	v_add_f64 v[98:99], v[32:33], -v[86:87]
	v_fma_f64 v[15:16], v[17:18], s[14:15], v[15:16]
	ds_read_b64 v[82:83], v62
	v_fma_f64 v[102:103], v[45:46], s[4:5], v[8:9]
	v_fma_f64 v[8:9], v[45:46], s[10:11], v[8:9]
	;; [unrolled: 1-line block ×3, first 2 shown]
	v_add_f64 v[84:85], v[84:85], v[32:33]
	v_fma_f64 v[6:7], v[50:51], s[4:5], v[6:7]
	v_add_f64 v[17:18], v[88:89], v[92:93]
	s_waitcnt lgkmcnt(0)
	s_barrier
	v_fma_f64 v[92:93], v[50:51], s[6:7], v[102:103]
	v_fma_f64 v[8:9], v[50:51], s[16:17], v[8:9]
	v_add_f64 v[88:89], v[96:97], v[98:99]
	v_fma_f64 v[96:97], v[45:46], s[6:7], v[108:109]
	v_add_f64 v[84:85], v[84:85], v[86:87]
	ds_write2_b64 v56, v[0:1], v[10:11] offset1:25
	v_fma_f64 v[0:1], v[45:46], s[16:17], v[6:7]
	ds_write2_b64 v56, v[19:20], v[2:3] offset0:50 offset1:75
	v_add_f64 v[2:3], v[28:29], v[80:81]
	v_fma_f64 v[6:7], v[17:18], s[14:15], v[92:93]
	v_fma_f64 v[8:9], v[17:18], s[14:15], v[8:9]
	v_add_f64 v[17:18], v[26:27], v[106:107]
	v_fma_f64 v[10:11], v[88:89], s[14:15], v[96:97]
	ds_write2_b64 v56, v[15:16], v[84:85] offset0:100 offset1:125
	v_add_f64 v[15:16], v[4:5], v[26:27]
	v_fma_f64 v[0:1], v[88:89], s[14:15], v[0:1]
	v_fma_f64 v[2:3], v[2:3], -0.5, v[4:5]
	v_add_f64 v[19:20], v[22:23], -v[90:91]
	v_add_f64 v[45:46], v[24:25], -v[48:49]
	v_fma_f64 v[4:5], v[17:18], -0.5, v[4:5]
	ds_write2_b64 v56, v[6:7], v[10:11] offset0:150 offset1:175
	v_add_f64 v[6:7], v[26:27], -v[28:29]
	v_add_f64 v[10:11], v[106:107], -v[80:81]
	v_add_f64 v[15:16], v[15:16], v[28:29]
	ds_write2_b64 v56, v[0:1], v[8:9] offset0:200 offset1:225
	v_fma_f64 v[0:1], v[19:20], s[4:5], v[2:3]
	v_add_f64 v[8:9], v[28:29], -v[26:27]
	v_add_f64 v[17:18], v[80:81], -v[106:107]
	v_fma_f64 v[50:51], v[45:46], s[10:11], v[4:5]
	v_fma_f64 v[4:5], v[45:46], s[4:5], v[4:5]
	;; [unrolled: 1-line block ×3, first 2 shown]
	v_add_f64 v[6:7], v[6:7], v[10:11]
	v_add_f64 v[10:11], v[15:16], v[80:81]
	v_fma_f64 v[0:1], v[45:46], s[6:7], v[0:1]
	v_add_f64 v[88:89], v[100:101], -v[38:39]
	v_add_f64 v[8:9], v[8:9], v[17:18]
	v_fma_f64 v[17:18], v[19:20], s[6:7], v[50:51]
	v_fma_f64 v[4:5], v[19:20], s[16:17], v[4:5]
	;; [unrolled: 1-line block ×3, first 2 shown]
	v_add_f64 v[19:20], v[94:95], -v[42:43]
	v_add_f64 v[38:39], v[104:105], -v[40:41]
	v_add_f64 v[15:16], v[42:43], v[40:41]
	v_add_f64 v[10:11], v[10:11], v[106:107]
	v_fma_f64 v[0:1], v[6:7], s[14:15], v[0:1]
	v_fma_f64 v[17:18], v[8:9], s[14:15], v[17:18]
	;; [unrolled: 1-line block ×4, first 2 shown]
	v_add_f64 v[84:85], v[52:53], -v[13:14]
	v_add_f64 v[92:93], v[19:20], v[38:39]
	v_lshl_add_u32 v20, v12, 3, v44
	v_add_u32_e32 v102, 0x400, v20
	v_add_u32_e32 v103, 0x800, v20
	v_add_f64 v[13:14], v[74:75], v[94:95]
	v_fma_f64 v[15:16], v[15:16], -0.5, v[74:75]
	ds_write2_b64 v102, v[10:11], v[0:1] offset0:122 offset1:147
	ds_write2_b64 v103, v[17:18], v[4:5] offset0:44 offset1:69
	ds_write_b64 v20, v[2:3] offset:2800
	v_add_f64 v[4:5], v[94:95], v[104:105]
	v_add_f64 v[78:79], v[78:79], -v[86:87]
	v_add_f64 v[32:33], v[36:37], -v[32:33]
	;; [unrolled: 1-line block ×3, first 2 shown]
	v_add_f64 v[13:14], v[13:14], v[42:43]
	v_fma_f64 v[45:46], v[84:85], s[10:11], v[15:16]
	v_fma_f64 v[100:101], v[84:85], s[4:5], v[15:16]
	v_add_f64 v[42:43], v[42:43], -v[94:95]
	v_fma_f64 v[74:75], v[4:5], -0.5, v[74:75]
	v_add_f64 v[28:29], v[28:29], -v[80:81]
	s_waitcnt lgkmcnt(0)
	s_barrier
	v_add_f64 v[6:7], v[13:14], v[40:41]
	v_fma_f64 v[8:9], v[88:89], s[16:17], v[45:46]
	v_add_f64 v[40:41], v[40:41], -v[104:105]
	v_fma_f64 v[94:95], v[88:89], s[4:5], v[74:75]
	v_fma_f64 v[74:75], v[88:89], s[10:11], v[74:75]
	;; [unrolled: 1-line block ×3, first 2 shown]
	v_add_f64 v[100:101], v[34:35], v[30:31]
	ds_read_b64 v[38:39], v54
	ds_read_b64 v[46:47], v62
	;; [unrolled: 1-line block ×5, first 2 shown]
	ds_read2_b64 v[0:3], v56 offset0:125 offset1:150
	v_fma_f64 v[98:99], v[92:93], s[14:15], v[8:9]
	v_add_f64 v[40:41], v[42:43], v[40:41]
	v_add_f64 v[96:97], v[6:7], v[104:105]
	v_fma_f64 v[42:43], v[84:85], s[16:17], v[94:95]
	v_fma_f64 v[74:75], v[84:85], s[6:7], v[74:75]
	;; [unrolled: 1-line block ×3, first 2 shown]
	v_add_f64 v[88:89], v[70:71], v[76:77]
	v_fma_f64 v[86:87], v[100:101], -0.5, v[72:73]
	v_add_f64 v[94:95], v[72:73], v[70:71]
	v_add_f64 v[92:93], v[70:71], -v[34:35]
	v_add_f64 v[100:101], v[76:77], -v[30:31]
	v_fma_f64 v[42:43], v[40:41], s[14:15], v[42:43]
	v_fma_f64 v[40:41], v[40:41], s[14:15], v[74:75]
	ds_read2_b64 v[4:7], v56 offset0:225 offset1:250
	v_fma_f64 v[36:37], v[88:89], -0.5, v[72:73]
	v_fma_f64 v[72:73], v[78:79], s[10:11], v[86:87]
	v_fma_f64 v[74:75], v[78:79], s[4:5], v[86:87]
	v_add_f64 v[86:87], v[94:95], v[34:35]
	v_add_f64 v[88:89], v[92:93], v[100:101]
	v_add_f64 v[34:35], v[34:35], -v[70:71]
	v_add_f64 v[70:71], v[30:31], -v[76:77]
	ds_read2_b64 v[8:11], v58 offset0:19 offset1:44
	ds_read2_b64 v[12:15], v56 offset0:175 offset1:200
	;; [unrolled: 1-line block ×3, first 2 shown]
	v_fma_f64 v[92:93], v[32:33], s[4:5], v[36:37]
	v_fma_f64 v[36:37], v[32:33], s[10:11], v[36:37]
	;; [unrolled: 1-line block ×3, first 2 shown]
	v_add_f64 v[30:31], v[86:87], v[30:31]
	v_add_f64 v[86:87], v[24:25], v[48:49]
	v_fma_f64 v[32:33], v[32:33], s[6:7], v[74:75]
	v_add_f64 v[74:75], v[22:23], v[90:91]
	v_add_f64 v[34:35], v[34:35], v[70:71]
	v_fma_f64 v[70:71], v[78:79], s[16:17], v[92:93]
	v_fma_f64 v[36:37], v[78:79], s[6:7], v[36:37]
	v_add_f64 v[78:79], v[82:83], v[22:23]
	v_add_f64 v[30:31], v[30:31], v[76:77]
	v_fma_f64 v[80:81], v[86:87], -0.5, v[82:83]
	v_add_f64 v[76:77], v[22:23], -v[24:25]
	v_fma_f64 v[74:75], v[74:75], -0.5, v[82:83]
	v_add_f64 v[82:83], v[90:91], -v[48:49]
	v_add_f64 v[22:23], v[24:25], -v[22:23]
	v_fma_f64 v[72:73], v[88:89], s[14:15], v[72:73]
	v_add_f64 v[78:79], v[78:79], v[24:25]
	v_add_f64 v[24:25], v[48:49], -v[90:91]
	v_fma_f64 v[92:93], v[26:27], s[10:11], v[80:81]
	v_fma_f64 v[80:81], v[26:27], s[4:5], v[80:81]
	;; [unrolled: 1-line block ×4, first 2 shown]
	v_add_f64 v[76:77], v[76:77], v[82:83]
	v_fma_f64 v[70:71], v[34:35], s[14:15], v[70:71]
	v_add_f64 v[48:49], v[78:79], v[48:49]
	v_add_f64 v[22:23], v[22:23], v[24:25]
	v_fma_f64 v[78:79], v[28:29], s[16:17], v[92:93]
	v_fma_f64 v[28:29], v[28:29], s[6:7], v[80:81]
	;; [unrolled: 1-line block ×6, first 2 shown]
	v_add_f64 v[36:37], v[48:49], v[90:91]
	s_waitcnt lgkmcnt(0)
	v_fma_f64 v[48:49], v[76:77], s[14:15], v[78:79]
	s_barrier
	v_fma_f64 v[24:25], v[22:23], s[14:15], v[24:25]
	v_fma_f64 v[22:23], v[22:23], s[14:15], v[26:27]
	;; [unrolled: 1-line block ×3, first 2 shown]
	ds_write2_b64 v56, v[96:97], v[98:99] offset1:25
	ds_write2_b64 v56, v[42:43], v[40:41] offset0:50 offset1:75
	ds_write2_b64 v56, v[84:85], v[30:31] offset0:100 offset1:125
	;; [unrolled: 1-line block ×6, first 2 shown]
	ds_write_b64 v20, v[26:27] offset:2800
	s_waitcnt lgkmcnt(0)
	s_barrier
	s_and_saveexec_b64 s[0:1], vcc
	s_cbranch_execz .LBB0_14
; %bb.13:
	v_lshlrev_b32_e32 v20, 1, v67
	v_lshlrev_b64 v[22:23], 4, v[20:21]
	v_mov_b32_e32 v67, s9
	v_add_co_u32_e32 v30, vcc, s8, v22
	v_addc_co_u32_e32 v31, vcc, v67, v23, vcc
	v_lshlrev_b32_e32 v20, 1, v66
	global_load_dwordx4 v[22:25], v[30:31], off offset:1936
	global_load_dwordx4 v[26:29], v[30:31], off offset:1920
	v_lshlrev_b64 v[30:31], 4, v[20:21]
	v_lshlrev_b32_e32 v20, 1, v69
	v_add_co_u32_e32 v40, vcc, s8, v30
	v_addc_co_u32_e32 v41, vcc, v67, v31, vcc
	global_load_dwordx4 v[30:33], v[40:41], off offset:1936
	global_load_dwordx4 v[34:37], v[40:41], off offset:1920
	v_lshlrev_b64 v[40:41], 4, v[20:21]
	v_lshlrev_b32_e32 v20, 1, v68
	v_add_co_u32_e32 v48, vcc, s8, v40
	v_addc_co_u32_e32 v49, vcc, v67, v41, vcc
	;; [unrolled: 6-line block ×3, first 2 shown]
	global_load_dwordx4 v[73:76], v[48:49], off offset:1920
	global_load_dwordx4 v[77:80], v[48:49], off offset:1936
	v_lshlrev_b64 v[20:21], 4, v[20:21]
	ds_read2_b64 v[81:84], v56 offset0:225 offset1:250
	ds_read2_b64 v[85:88], v58 offset0:69 offset1:94
	v_add_co_u32_e32 v20, vcc, s8, v20
	v_addc_co_u32_e32 v21, vcc, v67, v21, vcc
	global_load_dwordx4 v[89:92], v[20:21], off offset:1936
	global_load_dwordx4 v[93:96], v[20:21], off offset:1920
	ds_read2_b64 v[97:100], v56 offset0:175 offset1:200
	ds_read2_b64 v[101:104], v58 offset0:19 offset1:44
	ds_read_b64 v[20:21], v62
	ds_read2_b64 v[105:108], v56 offset0:125 offset1:150
	ds_read_b64 v[48:49], v59
	ds_read_b64 v[56:57], v57
	;; [unrolled: 1-line block ×4, first 2 shown]
	s_mov_b32 s0, 0xe8584caa
	s_mov_b32 s1, 0x3febb67a
	;; [unrolled: 1-line block ×4, first 2 shown]
	s_waitcnt vmcnt(9) lgkmcnt(8)
	v_mul_f64 v[109:110], v[87:88], v[24:25]
	s_waitcnt vmcnt(8)
	v_mul_f64 v[66:67], v[81:82], v[28:29]
	v_mul_f64 v[28:29], v[4:5], v[28:29]
	;; [unrolled: 1-line block ×3, first 2 shown]
	s_waitcnt vmcnt(7)
	v_mul_f64 v[113:114], v[85:86], v[32:33]
	s_waitcnt vmcnt(6) lgkmcnt(7)
	v_mul_f64 v[111:112], v[99:100], v[36:37]
	v_mul_f64 v[36:37], v[14:15], v[36:37]
	;; [unrolled: 1-line block ×3, first 2 shown]
	v_fma_f64 v[4:5], v[4:5], v[26:27], -v[66:67]
	v_fma_f64 v[26:27], v[26:27], v[81:82], v[28:29]
	v_fma_f64 v[18:19], v[18:19], v[22:23], -v[109:110]
	s_waitcnt vmcnt(5)
	v_mul_f64 v[115:116], v[97:98], v[42:43]
	s_waitcnt vmcnt(4) lgkmcnt(6)
	v_mul_f64 v[28:29], v[103:104], v[71:72]
	v_mul_f64 v[42:43], v[12:13], v[42:43]
	v_fma_f64 v[22:23], v[22:23], v[87:88], v[24:25]
	v_mul_f64 v[24:25], v[10:11], v[71:72]
	v_fma_f64 v[71:72], v[16:17], v[30:31], -v[113:114]
	v_fma_f64 v[14:15], v[14:15], v[34:35], -v[111:112]
	v_fma_f64 v[16:17], v[34:35], v[99:100], v[36:37]
	s_waitcnt vmcnt(2)
	v_mul_f64 v[81:82], v[101:102], v[79:80]
	v_mul_f64 v[34:35], v[8:9], v[79:80]
	v_fma_f64 v[30:31], v[30:31], v[85:86], v[32:33]
	v_fma_f64 v[79:80], v[12:13], v[40:41], -v[115:116]
	v_fma_f64 v[85:86], v[10:11], v[69:70], -v[28:29]
	v_fma_f64 v[10:11], v[40:41], v[97:98], v[42:43]
	v_fma_f64 v[40:41], v[69:70], v[103:104], v[24:25]
	v_add_f64 v[24:25], v[4:5], -v[18:19]
	v_add_f64 v[12:13], v[26:27], v[22:23]
	v_add_f64 v[32:33], v[4:5], v[18:19]
	;; [unrolled: 1-line block ×4, first 2 shown]
	s_waitcnt lgkmcnt(4)
	v_mul_f64 v[66:67], v[107:108], v[75:76]
	v_mul_f64 v[75:76], v[2:3], v[75:76]
	v_add_f64 v[103:104], v[10:11], v[40:41]
	s_waitcnt lgkmcnt(3)
	v_add_f64 v[28:29], v[26:27], v[48:49]
	v_add_f64 v[36:37], v[14:15], -v[71:72]
	s_waitcnt lgkmcnt(1)
	v_add_f64 v[68:69], v[16:17], v[58:59]
	v_add_f64 v[87:88], v[14:15], v[71:72]
	;; [unrolled: 1-line block ×3, first 2 shown]
	v_add_f64 v[99:100], v[79:80], -v[85:86]
	v_add_f64 v[109:110], v[10:11], v[20:21]
	v_add_f64 v[113:114], v[10:11], -v[40:41]
	v_fma_f64 v[48:49], v[12:13], -0.5, v[48:49]
	v_add_f64 v[10:11], v[4:5], v[18:19]
	v_fma_f64 v[4:5], v[42:43], -0.5, v[58:59]
	v_fma_f64 v[42:43], v[103:104], -0.5, v[20:21]
	v_add_f64 v[26:27], v[26:27], -v[22:23]
	v_add_f64 v[97:98], v[16:17], -v[30:31]
	v_add_f64 v[111:112], v[79:80], v[85:86]
	v_add_f64 v[12:13], v[22:23], v[28:29]
	v_fma_f64 v[22:23], v[32:33], -0.5, v[52:53]
	v_add_f64 v[16:17], v[30:31], v[68:69]
	v_add_f64 v[14:15], v[14:15], v[71:72]
	v_fma_f64 v[20:21], v[24:25], s[0:1], v[48:49]
	v_fma_f64 v[24:25], v[24:25], s[4:5], v[48:49]
	v_fma_f64 v[28:29], v[36:37], s[0:1], v[4:5]
	v_fma_f64 v[32:33], v[36:37], s[4:5], v[4:5]
	v_fma_f64 v[36:37], v[99:100], s[0:1], v[42:43]
	v_fma_f64 v[48:49], v[73:74], v[107:108], v[75:76]
	v_fma_f64 v[52:53], v[77:78], v[101:102], v[34:35]
	v_fma_f64 v[4:5], v[99:100], s[4:5], v[42:43]
	v_add_f64 v[42:43], v[40:41], v[109:110]
	s_waitcnt vmcnt(0)
	v_mul_f64 v[40:41], v[0:1], v[95:96]
	v_mul_f64 v[58:59], v[6:7], v[91:92]
	v_fma_f64 v[66:67], v[2:3], v[73:74], -v[66:67]
	v_fma_f64 v[68:69], v[8:9], v[77:78], -v[81:82]
	v_mul_f64 v[70:71], v[105:106], v[95:96]
	v_mul_f64 v[72:73], v[83:84], v[91:92]
	v_fma_f64 v[30:31], v[87:88], -0.5, v[50:51]
	v_fma_f64 v[50:51], v[111:112], -0.5, v[46:47]
	v_add_f64 v[8:9], v[48:49], v[52:53]
	v_fma_f64 v[74:75], v[93:94], v[105:106], v[40:41]
	v_fma_f64 v[76:77], v[89:90], v[83:84], v[58:59]
	v_add_f64 v[40:41], v[46:47], v[79:80]
	v_add_f64 v[46:47], v[66:67], v[68:69]
	v_fma_f64 v[0:1], v[0:1], v[93:94], -v[70:71]
	v_fma_f64 v[70:71], v[6:7], v[89:90], -v[72:73]
	v_fma_f64 v[34:35], v[113:114], s[4:5], v[50:51]
	v_fma_f64 v[2:3], v[113:114], s[0:1], v[50:51]
	v_add_f64 v[50:51], v[66:67], -v[68:69]
	v_fma_f64 v[58:59], v[8:9], -0.5, v[56:57]
	v_add_f64 v[6:7], v[74:75], v[76:77]
	v_add_f64 v[56:57], v[48:49], v[56:57]
	v_fma_f64 v[72:73], v[46:47], -0.5, v[44:45]
	v_add_f64 v[48:49], v[48:49], -v[52:53]
	v_add_f64 v[66:67], v[44:45], v[66:67]
	v_add_f64 v[82:83], v[0:1], v[70:71]
	v_add_f64 v[78:79], v[0:1], -v[70:71]
	v_fma_f64 v[8:9], v[50:51], s[0:1], v[58:59]
	s_waitcnt lgkmcnt(0)
	v_fma_f64 v[80:81], v[6:7], -0.5, v[54:55]
	v_fma_f64 v[46:47], v[50:51], s[4:5], v[58:59]
	v_add_f64 v[50:51], v[52:53], v[56:57]
	v_fma_f64 v[6:7], v[48:49], s[4:5], v[72:73]
	v_fma_f64 v[44:45], v[48:49], s[0:1], v[72:73]
	v_add_f64 v[48:49], v[66:67], v[68:69]
	v_add_f64 v[52:53], v[74:75], v[54:55]
	v_fma_f64 v[56:57], v[82:83], -0.5, v[38:39]
	v_add_f64 v[66:67], v[74:75], -v[76:77]
	v_mad_u64_u32 v[72:73], s[6:7], s2, v63, 0
	v_add_f64 v[0:1], v[38:39], v[0:1]
	v_add_f64 v[40:41], v[40:41], v[85:86]
	v_mov_b32_e32 v38, v73
	v_mad_u64_u32 v[38:39], s[6:7], s3, v63, v[38:39]
	v_add_f64 v[68:69], v[52:53], v[76:77]
	v_fma_f64 v[52:53], v[66:67], s[4:5], v[56:57]
	v_fma_f64 v[56:57], v[66:67], s[0:1], v[56:57]
	v_add_f64 v[66:67], v[0:1], v[70:71]
	v_add_co_u32_e32 v70, vcc, s12, v60
	v_add_u32_e32 v60, 0x7d, v63
	v_fma_f64 v[18:19], v[26:27], s[4:5], v[22:23]
	v_fma_f64 v[22:23], v[26:27], s[0:1], v[22:23]
	;; [unrolled: 1-line block ×5, first 2 shown]
	v_mov_b32_e32 v73, v38
	v_mad_u64_u32 v[38:39], s[0:1], s2, v60, 0
	v_mov_b32_e32 v0, s13
	v_addc_co_u32_e32 v71, vcc, v0, v61, vcc
	v_lshlrev_b64 v[0:1], 4, v[72:73]
	v_mad_u64_u32 v[60:61], s[0:1], s3, v60, v[39:40]
	v_add_u32_e32 v72, 0xfa, v63
	v_mad_u64_u32 v[61:62], s[0:1], s2, v72, 0
	v_add_co_u32_e32 v0, vcc, v70, v0
	v_addc_co_u32_e32 v1, vcc, v71, v1, vcc
	v_mov_b32_e32 v39, v60
	global_store_dwordx4 v[0:1], v[66:69], off
	v_lshlrev_b64 v[0:1], 4, v[38:39]
	v_mov_b32_e32 v38, v62
	v_fma_f64 v[58:59], v[78:79], s[4:5], v[80:81]
	v_mad_u64_u32 v[38:39], s[0:1], s3, v72, v[38:39]
	v_add_co_u32_e32 v0, vcc, v70, v0
	v_mov_b32_e32 v62, v38
	v_mad_u64_u32 v[38:39], s[4:5], s2, v65, 0
	v_addc_co_u32_e32 v1, vcc, v71, v1, vcc
	global_store_dwordx4 v[0:1], v[56:59], off
	v_lshlrev_b64 v[0:1], 4, v[61:62]
	v_mad_u64_u32 v[56:57], s[4:5], s3, v65, v[39:40]
	v_add_u32_e32 v59, 0x96, v63
	v_mad_u64_u32 v[57:58], s[4:5], s2, v59, 0
	v_add_co_u32_e32 v0, vcc, v70, v0
	v_addc_co_u32_e32 v1, vcc, v71, v1, vcc
	v_mov_b32_e32 v39, v56
	global_store_dwordx4 v[0:1], v[52:55], off
	v_lshlrev_b64 v[0:1], 4, v[38:39]
	v_mov_b32_e32 v38, v58
	v_mad_u64_u32 v[38:39], s[4:5], s3, v59, v[38:39]
	v_add_co_u32_e32 v0, vcc, v70, v0
	v_addc_co_u32_e32 v1, vcc, v71, v1, vcc
	global_store_dwordx4 v[0:1], v[48:51], off
	v_mov_b32_e32 v58, v38
	v_add_u32_e32 v48, 0x113, v63
	v_mad_u64_u32 v[38:39], s[4:5], s2, v48, 0
	s_mov_b32 s1, 0x10624dd3
	v_lshlrev_b64 v[0:1], 4, v[57:58]
	v_mad_u64_u32 v[48:49], s[4:5], s3, v48, v[39:40]
	v_mul_hi_u32 v49, v64, s1
	v_add_co_u32_e32 v0, vcc, v70, v0
	v_addc_co_u32_e32 v1, vcc, v71, v1, vcc
	v_mov_b32_e32 v39, v48
	s_movk_i32 s0, 0xfa
	global_store_dwordx4 v[0:1], v[44:47], off
	v_lshlrev_b64 v[0:1], 4, v[38:39]
	v_lshrrev_b32_e32 v38, 3, v49
	v_mad_u32_u24 v47, v38, s0, v64
	v_mad_u64_u32 v[38:39], s[4:5], s2, v47, 0
	v_add_u32_e32 v48, 0x7d, v47
	v_add_co_u32_e32 v0, vcc, v70, v0
	v_mad_u64_u32 v[44:45], s[4:5], s3, v47, v[39:40]
	v_mad_u64_u32 v[45:46], s[4:5], s2, v48, 0
	v_addc_co_u32_e32 v1, vcc, v71, v1, vcc
	global_store_dwordx4 v[0:1], v[6:9], off
	v_mov_b32_e32 v39, v44
	v_mov_b32_e32 v6, v46
	v_mad_u64_u32 v[6:7], s[4:5], s3, v48, v[6:7]
	v_add_u32_e32 v8, 0xfa, v47
	v_lshlrev_b64 v[0:1], 4, v[38:39]
	v_mov_b32_e32 v46, v6
	v_mad_u64_u32 v[6:7], s[4:5], s2, v8, 0
	v_add_co_u32_e32 v0, vcc, v70, v0
	v_mad_u64_u32 v[7:8], s[4:5], s3, v8, v[7:8]
	v_addc_co_u32_e32 v1, vcc, v71, v1, vcc
	v_add_u32_e32 v8, 0x4b, v63
	global_store_dwordx4 v[0:1], v[40:43], off
	v_lshlrev_b64 v[0:1], 4, v[45:46]
	v_mul_hi_u32 v9, v8, s1
	v_add_co_u32_e32 v0, vcc, v70, v0
	v_addc_co_u32_e32 v1, vcc, v71, v1, vcc
	global_store_dwordx4 v[0:1], v[2:5], off
	v_lshlrev_b64 v[0:1], 4, v[6:7]
	v_lshrrev_b32_e32 v2, 3, v9
	v_mad_u32_u24 v6, v2, s0, v8
	v_mad_u64_u32 v[2:3], s[4:5], s2, v6, 0
	v_add_u32_e32 v7, 0x7d, v6
	v_add_co_u32_e32 v0, vcc, v70, v0
	v_mad_u64_u32 v[3:4], s[4:5], s3, v6, v[3:4]
	v_mad_u64_u32 v[4:5], s[4:5], s2, v7, 0
	v_addc_co_u32_e32 v1, vcc, v71, v1, vcc
	global_store_dwordx4 v[0:1], v[34:37], off
	v_lshlrev_b64 v[0:1], 4, v[2:3]
	v_mov_b32_e32 v2, v5
	v_mad_u64_u32 v[2:3], s[4:5], s3, v7, v[2:3]
	v_add_co_u32_e32 v0, vcc, v70, v0
	v_addc_co_u32_e32 v1, vcc, v71, v1, vcc
	v_mov_b32_e32 v5, v2
	global_store_dwordx4 v[0:1], v[14:17], off
	v_lshlrev_b64 v[0:1], 4, v[4:5]
	v_add_u32_e32 v4, 0xfa, v6
	v_mad_u64_u32 v[2:3], s[4:5], s2, v4, 0
	v_add_u32_e32 v5, 0x64, v63
	v_mul_hi_u32 v6, v5, s1
	v_mad_u64_u32 v[3:4], s[4:5], s3, v4, v[3:4]
	v_add_co_u32_e32 v0, vcc, v70, v0
	v_lshrrev_b32_e32 v4, 3, v6
	v_mad_u32_u24 v6, v4, s0, v5
	v_mad_u64_u32 v[4:5], s[0:1], s2, v6, 0
	v_addc_co_u32_e32 v1, vcc, v71, v1, vcc
	global_store_dwordx4 v[0:1], v[30:33], off
	v_lshlrev_b64 v[0:1], 4, v[2:3]
	v_mov_b32_e32 v2, v5
	v_mad_u64_u32 v[2:3], s[0:1], s3, v6, v[2:3]
	v_add_co_u32_e32 v0, vcc, v70, v0
	v_addc_co_u32_e32 v1, vcc, v71, v1, vcc
	v_mov_b32_e32 v5, v2
	global_store_dwordx4 v[0:1], v[26:29], off
	v_lshlrev_b64 v[0:1], 4, v[4:5]
	v_add_u32_e32 v4, 0x7d, v6
	v_mad_u64_u32 v[2:3], s[0:1], s2, v4, 0
	v_add_u32_e32 v6, 0xfa, v6
	v_add_co_u32_e32 v0, vcc, v70, v0
	v_mad_u64_u32 v[3:4], s[0:1], s3, v4, v[3:4]
	v_mad_u64_u32 v[4:5], s[0:1], s2, v6, 0
	v_addc_co_u32_e32 v1, vcc, v71, v1, vcc
	global_store_dwordx4 v[0:1], v[10:13], off
	v_lshlrev_b64 v[0:1], 4, v[2:3]
	v_mov_b32_e32 v2, v5
	v_mad_u64_u32 v[2:3], s[0:1], s3, v6, v[2:3]
	v_add_co_u32_e32 v0, vcc, v70, v0
	v_addc_co_u32_e32 v1, vcc, v71, v1, vcc
	v_mov_b32_e32 v5, v2
	global_store_dwordx4 v[0:1], v[22:25], off
	v_lshlrev_b64 v[0:1], 4, v[4:5]
	v_add_co_u32_e32 v0, vcc, v70, v0
	v_addc_co_u32_e32 v1, vcc, v71, v1, vcc
	global_store_dwordx4 v[0:1], v[18:21], off
.LBB0_14:
	s_endpgm
	.section	.rodata,"a",@progbits
	.p2align	6, 0x0
	.amdhsa_kernel fft_rtc_fwd_len375_factors_5_5_5_3_wgs_125_tpt_25_halfLds_dp_ip_CI_sbrr_dirReg
		.amdhsa_group_segment_fixed_size 0
		.amdhsa_private_segment_fixed_size 0
		.amdhsa_kernarg_size 88
		.amdhsa_user_sgpr_count 6
		.amdhsa_user_sgpr_private_segment_buffer 1
		.amdhsa_user_sgpr_dispatch_ptr 0
		.amdhsa_user_sgpr_queue_ptr 0
		.amdhsa_user_sgpr_kernarg_segment_ptr 1
		.amdhsa_user_sgpr_dispatch_id 0
		.amdhsa_user_sgpr_flat_scratch_init 0
		.amdhsa_user_sgpr_private_segment_size 0
		.amdhsa_uses_dynamic_stack 0
		.amdhsa_system_sgpr_private_segment_wavefront_offset 0
		.amdhsa_system_sgpr_workgroup_id_x 1
		.amdhsa_system_sgpr_workgroup_id_y 0
		.amdhsa_system_sgpr_workgroup_id_z 0
		.amdhsa_system_sgpr_workgroup_info 0
		.amdhsa_system_vgpr_workitem_id 0
		.amdhsa_next_free_vgpr 130
		.amdhsa_next_free_sgpr 24
		.amdhsa_reserve_vcc 1
		.amdhsa_reserve_flat_scratch 0
		.amdhsa_float_round_mode_32 0
		.amdhsa_float_round_mode_16_64 0
		.amdhsa_float_denorm_mode_32 3
		.amdhsa_float_denorm_mode_16_64 3
		.amdhsa_dx10_clamp 1
		.amdhsa_ieee_mode 1
		.amdhsa_fp16_overflow 0
		.amdhsa_exception_fp_ieee_invalid_op 0
		.amdhsa_exception_fp_denorm_src 0
		.amdhsa_exception_fp_ieee_div_zero 0
		.amdhsa_exception_fp_ieee_overflow 0
		.amdhsa_exception_fp_ieee_underflow 0
		.amdhsa_exception_fp_ieee_inexact 0
		.amdhsa_exception_int_div_zero 0
	.end_amdhsa_kernel
	.text
.Lfunc_end0:
	.size	fft_rtc_fwd_len375_factors_5_5_5_3_wgs_125_tpt_25_halfLds_dp_ip_CI_sbrr_dirReg, .Lfunc_end0-fft_rtc_fwd_len375_factors_5_5_5_3_wgs_125_tpt_25_halfLds_dp_ip_CI_sbrr_dirReg
                                        ; -- End function
	.section	.AMDGPU.csdata,"",@progbits
; Kernel info:
; codeLenInByte = 10664
; NumSgprs: 28
; NumVgprs: 130
; ScratchSize: 0
; MemoryBound: 1
; FloatMode: 240
; IeeeMode: 1
; LDSByteSize: 0 bytes/workgroup (compile time only)
; SGPRBlocks: 3
; VGPRBlocks: 32
; NumSGPRsForWavesPerEU: 28
; NumVGPRsForWavesPerEU: 130
; Occupancy: 1
; WaveLimiterHint : 1
; COMPUTE_PGM_RSRC2:SCRATCH_EN: 0
; COMPUTE_PGM_RSRC2:USER_SGPR: 6
; COMPUTE_PGM_RSRC2:TRAP_HANDLER: 0
; COMPUTE_PGM_RSRC2:TGID_X_EN: 1
; COMPUTE_PGM_RSRC2:TGID_Y_EN: 0
; COMPUTE_PGM_RSRC2:TGID_Z_EN: 0
; COMPUTE_PGM_RSRC2:TIDIG_COMP_CNT: 0
	.type	__hip_cuid_510dc808d08aefb6,@object ; @__hip_cuid_510dc808d08aefb6
	.section	.bss,"aw",@nobits
	.globl	__hip_cuid_510dc808d08aefb6
__hip_cuid_510dc808d08aefb6:
	.byte	0                               ; 0x0
	.size	__hip_cuid_510dc808d08aefb6, 1

	.ident	"AMD clang version 19.0.0git (https://github.com/RadeonOpenCompute/llvm-project roc-6.4.0 25133 c7fe45cf4b819c5991fe208aaa96edf142730f1d)"
	.section	".note.GNU-stack","",@progbits
	.addrsig
	.addrsig_sym __hip_cuid_510dc808d08aefb6
	.amdgpu_metadata
---
amdhsa.kernels:
  - .args:
      - .actual_access:  read_only
        .address_space:  global
        .offset:         0
        .size:           8
        .value_kind:     global_buffer
      - .offset:         8
        .size:           8
        .value_kind:     by_value
      - .actual_access:  read_only
        .address_space:  global
        .offset:         16
        .size:           8
        .value_kind:     global_buffer
      - .actual_access:  read_only
        .address_space:  global
        .offset:         24
        .size:           8
        .value_kind:     global_buffer
      - .offset:         32
        .size:           8
        .value_kind:     by_value
      - .actual_access:  read_only
        .address_space:  global
        .offset:         40
        .size:           8
        .value_kind:     global_buffer
      - .actual_access:  read_only
        .address_space:  global
        .offset:         48
        .size:           8
        .value_kind:     global_buffer
      - .offset:         56
        .size:           4
        .value_kind:     by_value
      - .actual_access:  read_only
        .address_space:  global
        .offset:         64
        .size:           8
        .value_kind:     global_buffer
      - .actual_access:  read_only
        .address_space:  global
        .offset:         72
        .size:           8
        .value_kind:     global_buffer
      - .address_space:  global
        .offset:         80
        .size:           8
        .value_kind:     global_buffer
    .group_segment_fixed_size: 0
    .kernarg_segment_align: 8
    .kernarg_segment_size: 88
    .language:       OpenCL C
    .language_version:
      - 2
      - 0
    .max_flat_workgroup_size: 125
    .name:           fft_rtc_fwd_len375_factors_5_5_5_3_wgs_125_tpt_25_halfLds_dp_ip_CI_sbrr_dirReg
    .private_segment_fixed_size: 0
    .sgpr_count:     28
    .sgpr_spill_count: 0
    .symbol:         fft_rtc_fwd_len375_factors_5_5_5_3_wgs_125_tpt_25_halfLds_dp_ip_CI_sbrr_dirReg.kd
    .uniform_work_group_size: 1
    .uses_dynamic_stack: false
    .vgpr_count:     130
    .vgpr_spill_count: 0
    .wavefront_size: 64
amdhsa.target:   amdgcn-amd-amdhsa--gfx906
amdhsa.version:
  - 1
  - 2
...

	.end_amdgpu_metadata
